;; amdgpu-corpus repo=ROCm/rocFFT kind=compiled arch=gfx1201 opt=O3
	.text
	.amdgcn_target "amdgcn-amd-amdhsa--gfx1201"
	.amdhsa_code_object_version 6
	.protected	fft_rtc_fwd_len4096_factors_8_16_4_8_wgs_256_tpt_128_halfLds_dim2_sp_ip_CI_sbrr_dirReg ; -- Begin function fft_rtc_fwd_len4096_factors_8_16_4_8_wgs_256_tpt_128_halfLds_dim2_sp_ip_CI_sbrr_dirReg
	.globl	fft_rtc_fwd_len4096_factors_8_16_4_8_wgs_256_tpt_128_halfLds_dim2_sp_ip_CI_sbrr_dirReg
	.p2align	8
	.type	fft_rtc_fwd_len4096_factors_8_16_4_8_wgs_256_tpt_128_halfLds_dim2_sp_ip_CI_sbrr_dirReg,@function
fft_rtc_fwd_len4096_factors_8_16_4_8_wgs_256_tpt_128_halfLds_dim2_sp_ip_CI_sbrr_dirReg: ; @fft_rtc_fwd_len4096_factors_8_16_4_8_wgs_256_tpt_128_halfLds_dim2_sp_ip_CI_sbrr_dirReg
; %bb.0:
	s_load_b128 s[8:11], s[0:1], 0x8
	v_lshrrev_b32_e32 v130, 7, v0
	v_dual_mov_b32 v2, 0 :: v_dual_mov_b32 v3, 0
	v_mov_b32_e32 v4, 0
	s_mov_b32 s2, exec_lo
	s_delay_alu instid0(VALU_DEP_3)
	v_lshl_or_b32 v1, ttmp9, 1, v130
	s_wait_kmcnt 0x0
	s_load_b64 s[12:13], s[8:9], 0x8
	s_load_b128 s[4:7], s[10:11], 0x0
	s_wait_kmcnt 0x0
	v_cmpx_le_u64_e64 s[12:13], v[1:2]
	s_cbranch_execz .LBB0_2
; %bb.1:
	v_cvt_f32_u32_e32 v3, s12
	s_sub_co_i32 s3, 0, s12
	s_delay_alu instid0(VALU_DEP_1) | instskip(NEXT) | instid1(TRANS32_DEP_1)
	v_rcp_iflag_f32_e32 v3, v3
	v_mul_f32_e32 v3, 0x4f7ffffe, v3
	s_delay_alu instid0(VALU_DEP_1) | instskip(NEXT) | instid1(VALU_DEP_1)
	v_cvt_u32_f32_e32 v3, v3
	v_mul_lo_u32 v4, s3, v3
	s_delay_alu instid0(VALU_DEP_1) | instskip(NEXT) | instid1(VALU_DEP_1)
	v_mul_hi_u32 v4, v3, v4
	v_add_nc_u32_e32 v3, v3, v4
	s_delay_alu instid0(VALU_DEP_1) | instskip(NEXT) | instid1(VALU_DEP_1)
	v_mul_hi_u32 v3, v1, v3
	v_mul_lo_u32 v4, v3, s12
	v_add_nc_u32_e32 v5, 1, v3
	s_delay_alu instid0(VALU_DEP_2) | instskip(NEXT) | instid1(VALU_DEP_1)
	v_sub_nc_u32_e32 v4, v1, v4
	v_subrev_nc_u32_e32 v6, s12, v4
	v_cmp_le_u32_e32 vcc_lo, s12, v4
	s_delay_alu instid0(VALU_DEP_2) | instskip(NEXT) | instid1(VALU_DEP_1)
	v_dual_cndmask_b32 v4, v4, v6 :: v_dual_cndmask_b32 v3, v3, v5
	v_cmp_le_u32_e32 vcc_lo, s12, v4
	s_delay_alu instid0(VALU_DEP_2) | instskip(SKIP_1) | instid1(VALU_DEP_1)
	v_dual_mov_b32 v4, v2 :: v_dual_add_nc_u32 v5, 1, v3
	s_wait_alu 0xfffd
	v_cndmask_b32_e32 v3, v3, v5, vcc_lo
.LBB0_2:
	s_or_b32 exec_lo, exec_lo, s2
	s_delay_alu instid0(VALU_DEP_1)
	v_mad_co_u64_u32 v[5:6], null, v3, s12, 0
	s_clause 0x2
	s_load_b64 s[8:9], s[0:1], 0x0
	s_load_b64 s[2:3], s[0:1], 0x48
	;; [unrolled: 1-line block ×4, first 2 shown]
	v_and_b32_e32 v98, 0x7f, v0
	v_or_b32_e32 v72, 0x380, v0
	v_or_b32_e32 v68, 0x780, v0
	;; [unrolled: 1-line block ×3, first 2 shown]
	v_mov_b32_e32 v2, v6
	v_sub_co_u32 v1, vcc_lo, v1, v5
	v_or_b32_e32 v90, 0x80, v98
	v_or_b32_e32 v82, 0x100, v98
	s_delay_alu instid0(VALU_DEP_4)
	v_mad_co_u64_u32 v[6:7], null, v3, s13, v[2:3]
	v_or_b32_e32 v74, 0x180, v98
	v_or_b32_e32 v97, 0x200, v98
	;; [unrolled: 1-line block ×6, first 2 shown]
	v_mov_b32_e32 v2, v6
	v_mul_lo_u32 v6, s7, v1
	v_or_b32_e32 v79, 0x500, v98
	v_or_b32_e32 v73, 0x580, v98
	;; [unrolled: 1-line block ×3, first 2 shown]
	s_wait_alu 0xfffd
	v_sub_co_ci_u32_e32 v5, vcc_lo, 0, v2, vcc_lo
	v_mad_co_u64_u32 v[1:2], null, s6, v1, 0
	s_wait_kmcnt 0x0
	v_cmp_gt_u64_e32 vcc_lo, s[0:1], v[3:4]
	s_delay_alu instid0(VALU_DEP_3)
	v_mul_lo_u32 v5, s6, v5
	v_cmp_le_u64_e64 s0, s[0:1], v[3:4]
	v_or_b32_e32 v86, 0x680, v98
	v_or_b32_e32 v80, 0x700, v98
	;; [unrolled: 1-line block ×6, first 2 shown]
	v_add3_u32 v2, v2, v5, v6
	v_or_b32_e32 v94, 0xa00, v98
	v_or_b32_e32 v85, 0xa80, v98
	;; [unrolled: 1-line block ×4, first 2 shown]
	v_mad_co_u64_u32 v[1:2], null, s10, v3, v[1:2]
	v_or_b32_e32 v84, 0xc80, v98
	v_or_b32_e32 v75, 0xd00, v98
	;; [unrolled: 1-line block ×6, first 2 shown]
	v_mad_co_u64_u32 v[2:3], null, s11, v3, v[2:3]
	v_or_b32_e32 v70, 0xf80, v0
                                        ; implicit-def: $sgpr6_sgpr7
                                        ; implicit-def: $vgpr99
                                        ; implicit-def: $vgpr100
                                        ; implicit-def: $vgpr101
                                        ; implicit-def: $vgpr129
                                        ; implicit-def: $vgpr128
                                        ; implicit-def: $vgpr127
                                        ; implicit-def: $vgpr126
                                        ; implicit-def: $vgpr125
                                        ; implicit-def: $vgpr124
                                        ; implicit-def: $vgpr123
                                        ; implicit-def: $vgpr122
                                        ; implicit-def: $vgpr121
                                        ; implicit-def: $vgpr120
                                        ; implicit-def: $vgpr119
                                        ; implicit-def: $vgpr118
                                        ; implicit-def: $vgpr117
                                        ; implicit-def: $vgpr116
                                        ; implicit-def: $vgpr115
                                        ; implicit-def: $vgpr114
                                        ; implicit-def: $vgpr113
                                        ; implicit-def: $vgpr112
                                        ; implicit-def: $vgpr111
                                        ; implicit-def: $vgpr110
                                        ; implicit-def: $vgpr109
                                        ; implicit-def: $vgpr108
                                        ; implicit-def: $vgpr107
                                        ; implicit-def: $vgpr106
                                        ; implicit-def: $vgpr105
                                        ; implicit-def: $vgpr104
                                        ; implicit-def: $vgpr103
                                        ; implicit-def: $vgpr102
	s_and_saveexec_b32 s1, s0
	s_wait_alu 0xfffe
	s_xor_b32 s0, exec_lo, s1
	s_cbranch_execz .LBB0_4
; %bb.3:
	v_or_b32_e32 v99, 0x80, v98
	v_or_b32_e32 v100, 0x100, v98
	;; [unrolled: 1-line block ×31, first 2 shown]
	s_mov_b64 s[6:7], 0
.LBB0_4:
	s_wait_alu 0xfffe
	s_or_saveexec_b32 s1, s0
	v_lshlrev_b64_e32 v[1:2], 3, v[1:2]
	v_dual_mov_b32 v3, s6 :: v_dual_mov_b32 v4, s7
	v_dual_mov_b32 v10, s7 :: v_dual_mov_b32 v9, s6
	;; [unrolled: 1-line block ×16, first 2 shown]
                                        ; implicit-def: $vgpr24
                                        ; implicit-def: $vgpr22
                                        ; implicit-def: $vgpr26
                                        ; implicit-def: $vgpr20
                                        ; implicit-def: $vgpr42
                                        ; implicit-def: $vgpr36
                                        ; implicit-def: $vgpr40
                                        ; implicit-def: $vgpr56
                                        ; implicit-def: $vgpr46
                                        ; implicit-def: $vgpr52
                                        ; implicit-def: $vgpr44
                                        ; implicit-def: $vgpr66
                                        ; implicit-def: $vgpr60
                                        ; implicit-def: $vgpr64
                                        ; implicit-def: $vgpr62
                                        ; implicit-def: $vgpr38
	s_wait_alu 0xfffe
	s_xor_b32 exec_lo, exec_lo, s1
	s_cbranch_execz .LBB0_6
; %bb.5:
	v_mad_co_u64_u32 v[3:4], null, s4, v98, 0
	v_mad_co_u64_u32 v[5:6], null, s4, v97, 0
	;; [unrolled: 1-line block ×5, first 2 shown]
	s_delay_alu instid0(VALU_DEP_4) | instskip(NEXT) | instid1(VALU_DEP_4)
	v_mad_co_u64_u32 v[11:12], null, s5, v98, v[4:5]
	v_mad_co_u64_u32 v[12:13], null, s5, v97, v[6:7]
	s_delay_alu instid0(VALU_DEP_4) | instskip(SKIP_1) | instid1(VALU_DEP_4)
	v_mad_co_u64_u32 v[13:14], null, s5, v96, v[8:9]
	v_add_co_u32 v47, s0, s2, v1
	v_mov_b32_e32 v4, v11
	v_mad_co_u64_u32 v[10:11], null, s5, v95, v[10:11]
	v_mov_b32_e32 v6, v12
	v_mad_co_u64_u32 v[11:12], null, s4, v93, 0
	s_delay_alu instid0(VALU_DEP_4)
	v_lshlrev_b64_e32 v[3:4], 3, v[3:4]
	v_mad_co_u64_u32 v[27:28], null, s4, v90, 0
	v_mov_b32_e32 v8, v13
	s_wait_alu 0xf1ff
	v_add_co_ci_u32_e64 v48, s0, s3, v2, s0
	v_lshlrev_b64_e32 v[5:6], 3, v[5:6]
	v_mad_co_u64_u32 v[12:13], null, s5, v93, v[12:13]
	v_add_co_u32 v3, s0, v47, v3
	v_lshlrev_b64_e32 v[7:8], 3, v[7:8]
	v_mad_co_u64_u32 v[13:14], null, s4, v94, 0
	s_wait_alu 0xf1ff
	v_add_co_ci_u32_e64 v4, s0, v48, v4, s0
	v_add_co_u32 v5, s0, v47, v5
	v_lshlrev_b64_e32 v[9:10], 3, v[9:10]
	s_wait_alu 0xf1ff
	v_add_co_ci_u32_e64 v6, s0, v48, v6, s0
	v_mad_co_u64_u32 v[21:22], null, s4, v91, 0
	v_add_co_u32 v15, s0, v47, v7
	s_wait_alu 0xf1ff
	v_add_co_ci_u32_e64 v16, s0, v48, v8, s0
	v_mov_b32_e32 v7, v14
	v_add_co_u32 v17, s0, v47, v9
	s_wait_alu 0xf1ff
	v_add_co_ci_u32_e64 v18, s0, v48, v10, s0
	s_delay_alu instid0(VALU_DEP_3)
	v_mad_co_u64_u32 v[23:24], null, s5, v94, v[7:8]
	s_clause 0x3
	global_load_b64 v[3:4], v[3:4], off
	global_load_b64 v[7:8], v[5:6], off
	;; [unrolled: 1-line block ×4, first 2 shown]
	v_mov_b32_e32 v15, v20
	v_mad_co_u64_u32 v[29:30], null, s4, v89, 0
	v_mov_b32_e32 v16, v22
	v_mad_co_u64_u32 v[31:32], null, s4, v87, 0
	v_mov_b32_e32 v14, v23
	v_lshlrev_b64_e32 v[11:12], 3, v[11:12]
	s_delay_alu instid0(VALU_DEP_4) | instskip(SKIP_1) | instid1(VALU_DEP_4)
	v_mad_co_u64_u32 v[17:18], null, s5, v92, v[15:16]
	v_mad_co_u64_u32 v[37:38], null, s4, v83, 0
	v_lshlrev_b64_e32 v[13:14], 3, v[13:14]
	s_delay_alu instid0(VALU_DEP_4)
	v_add_co_u32 v11, s0, v47, v11
	s_wait_alu 0xf1ff
	v_add_co_ci_u32_e64 v12, s0, v48, v12, s0
	v_mad_co_u64_u32 v[15:16], null, s5, v91, v[16:17]
	v_mov_b32_e32 v20, v17
	v_add_co_u32 v13, s0, v47, v13
	s_wait_alu 0xf1ff
	v_add_co_ci_u32_e64 v14, s0, v48, v14, s0
	s_delay_alu instid0(VALU_DEP_3) | instskip(SKIP_3) | instid1(VALU_DEP_3)
	v_lshlrev_b64_e32 v[16:17], 3, v[19:20]
	v_dual_mov_b32 v22, v15 :: v_dual_mov_b32 v15, v28
	v_mad_co_u64_u32 v[33:34], null, s4, v86, 0
	v_mad_co_u64_u32 v[43:44], null, s4, v82, 0
	v_lshlrev_b64_e32 v[18:19], 3, v[21:22]
	s_delay_alu instid0(VALU_DEP_4) | instskip(SKIP_3) | instid1(VALU_DEP_4)
	v_mad_co_u64_u32 v[20:21], null, s5, v90, v[15:16]
	v_add_co_u32 v15, s0, v47, v16
	s_wait_alu 0xf1ff
	v_add_co_ci_u32_e64 v16, s0, v48, v17, s0
	v_add_co_u32 v17, s0, v47, v18
	s_wait_alu 0xf1ff
	v_add_co_ci_u32_e64 v18, s0, v48, v19, s0
	v_dual_mov_b32 v28, v20 :: v_dual_mov_b32 v19, v30
	v_mad_co_u64_u32 v[45:46], null, s4, v81, 0
	v_mad_co_u64_u32 v[49:50], null, s4, v79, 0
	s_delay_alu instid0(VALU_DEP_3)
	v_mad_co_u64_u32 v[35:36], null, s5, v89, v[19:20]
	s_clause 0x3
	global_load_b64 v[23:24], v[11:12], off
	global_load_b64 v[21:22], v[13:14], off
	;; [unrolled: 1-line block ×4, first 2 shown]
	v_lshlrev_b64_e32 v[12:13], 3, v[27:28]
	v_dual_mov_b32 v11, v32 :: v_dual_mov_b32 v14, v34
	v_mad_co_u64_u32 v[27:28], null, s4, v88, 0
	v_mov_b32_e32 v30, v35
	s_delay_alu instid0(VALU_DEP_3)
	v_mad_co_u64_u32 v[15:16], null, s5, v87, v[11:12]
	v_add_co_u32 v11, s0, v47, v12
	s_wait_alu 0xf1ff
	v_add_co_ci_u32_e64 v12, s0, v48, v13, s0
	v_mov_b32_e32 v13, v28
	v_mad_co_u64_u32 v[56:57], null, s4, v76, 0
	v_mad_co_u64_u32 v[16:17], null, s5, v86, v[14:15]
	v_mov_b32_e32 v32, v15
	v_lshlrev_b64_e32 v[17:18], 3, v[29:30]
	v_mad_co_u64_u32 v[51:52], null, s4, v80, 0
	v_mad_co_u64_u32 v[64:65], null, s4, v73, 0
	s_delay_alu instid0(VALU_DEP_4) | instskip(SKIP_4) | instid1(VALU_DEP_3)
	v_lshlrev_b64_e32 v[14:15], 3, v[31:32]
	v_mov_b32_e32 v34, v16
	v_add_co_u32 v17, s0, v47, v17
	s_wait_alu 0xf1ff
	v_add_co_ci_u32_e64 v18, s0, v48, v18, s0
	v_lshlrev_b64_e32 v[28:29], 3, v[33:34]
	v_mad_co_u64_u32 v[30:31], null, s5, v88, v[13:14]
	v_mad_co_u64_u32 v[31:32], null, s4, v85, 0
	v_add_co_u32 v33, s0, v47, v14
	s_wait_alu 0xf1ff
	v_add_co_ci_u32_e64 v34, s0, v48, v15, s0
	v_add_co_u32 v35, s0, v47, v28
	s_wait_alu 0xf1ff
	v_add_co_ci_u32_e64 v36, s0, v48, v29, s0
	v_mov_b32_e32 v28, v30
	v_mad_co_u64_u32 v[29:30], null, s4, v84, 0
	v_mov_b32_e32 v13, v32
	v_mad_co_u64_u32 v[60:61], null, s4, v72, 0
	s_delay_alu instid0(VALU_DEP_4) | instskip(SKIP_1) | instid1(VALU_DEP_4)
	v_lshlrev_b64_e32 v[27:28], 3, v[27:28]
	v_mad_co_u64_u32 v[101:102], null, s4, v70, 0
	v_mad_co_u64_u32 v[39:40], null, s5, v85, v[13:14]
	s_clause 0x3
	global_load_b64 v[15:16], v[11:12], off
	global_load_b64 v[13:14], v[17:18], off
	;; [unrolled: 1-line block ×4, first 2 shown]
	v_mad_co_u64_u32 v[34:35], null, s5, v84, v[30:31]
	v_mov_b32_e32 v33, v38
	v_add_co_u32 v27, s0, v47, v27
	v_mov_b32_e32 v32, v39
	s_wait_alu 0xf1ff
	v_add_co_ci_u32_e64 v28, s0, v48, v28, s0
	v_mad_co_u64_u32 v[35:36], null, s5, v83, v[33:34]
	v_mov_b32_e32 v30, v34
	v_lshlrev_b64_e32 v[31:32], 3, v[31:32]
	v_dual_mov_b32 v33, v44 :: v_dual_mov_b32 v108, v84
	v_mov_b32_e32 v110, v67
	s_delay_alu instid0(VALU_DEP_4) | instskip(SKIP_4) | instid1(VALU_DEP_3)
	v_lshlrev_b64_e32 v[29:30], 3, v[29:30]
	v_mov_b32_e32 v38, v35
	v_add_co_u32 v31, s0, v47, v31
	s_wait_alu 0xf1ff
	v_add_co_ci_u32_e64 v32, s0, v48, v32, s0
	v_lshlrev_b64_e32 v[34:35], 3, v[37:38]
	v_add_co_u32 v29, s0, v47, v29
	s_wait_alu 0xf1ff
	v_add_co_ci_u32_e64 v30, s0, v48, v30, s0
	v_mov_b32_e32 v112, v85
	s_delay_alu instid0(VALU_DEP_4) | instskip(SKIP_4) | instid1(VALU_DEP_4)
	v_mad_co_u64_u32 v[36:37], null, s5, v82, v[33:34]
	v_add_co_u32 v33, s0, v47, v34
	s_wait_alu 0xf1ff
	v_add_co_ci_u32_e64 v34, s0, v48, v35, s0
	v_dual_mov_b32 v35, v46 :: v_dual_mov_b32 v114, v71
	v_mov_b32_e32 v44, v36
	v_mov_b32_e32 v116, v88
	;; [unrolled: 1-line block ×3, first 2 shown]
	s_delay_alu instid0(VALU_DEP_4)
	v_mad_co_u64_u32 v[53:54], null, s5, v81, v[35:36]
	s_clause 0x3
	global_load_b64 v[41:42], v[27:28], off
	global_load_b64 v[35:36], v[31:32], off
	;; [unrolled: 1-line block ×4, first 2 shown]
	v_lshlrev_b64_e32 v[28:29], 3, v[43:44]
	v_dual_mov_b32 v27, v50 :: v_dual_mov_b32 v30, v52
	v_mad_co_u64_u32 v[43:44], null, s4, v78, 0
	v_mov_b32_e32 v46, v53
	s_delay_alu instid0(VALU_DEP_3) | instskip(SKIP_4) | instid1(VALU_DEP_4)
	v_mad_co_u64_u32 v[31:32], null, s5, v79, v[27:28]
	v_add_co_u32 v27, s0, v47, v28
	s_wait_alu 0xf1ff
	v_add_co_ci_u32_e64 v28, s0, v48, v29, s0
	v_dual_mov_b32 v29, v44 :: v_dual_mov_b32 v120, v86
	v_mad_co_u64_u32 v[32:33], null, s5, v80, v[30:31]
	v_lshlrev_b64_e32 v[33:34], 3, v[45:46]
	v_mov_b32_e32 v50, v31
	v_mov_b32_e32 v122, v73
	;; [unrolled: 1-line block ×5, first 2 shown]
	v_add_co_u32 v30, s0, v47, v33
	v_mov_b32_e32 v52, v32
	v_lshlrev_b64_e32 v[32:33], 3, v[49:50]
	s_wait_alu 0xf1ff
	v_add_co_ci_u32_e64 v31, s0, v48, v34, s0
	v_mad_co_u64_u32 v[49:50], null, s5, v78, v[29:30]
	v_lshlrev_b64_e32 v[44:45], 3, v[51:52]
	v_mad_co_u64_u32 v[50:51], null, s4, v77, 0
	v_add_co_u32 v52, s0, v47, v32
	s_wait_alu 0xf1ff
	v_add_co_ci_u32_e64 v53, s0, v48, v33, s0
	s_delay_alu instid0(VALU_DEP_4)
	v_add_co_u32 v54, s0, v47, v44
	s_wait_alu 0xf1ff
	v_add_co_ci_u32_e64 v55, s0, v48, v45, s0
	v_mov_b32_e32 v29, v51
	v_mad_co_u64_u32 v[45:46], null, s4, v75, 0
	v_dual_mov_b32 v44, v49 :: v_dual_mov_b32 v49, v57
	s_delay_alu instid0(VALU_DEP_3)
	v_mad_co_u64_u32 v[58:59], null, s5, v77, v[29:30]
	s_clause 0x3
	global_load_b64 v[33:34], v[27:28], off
	global_load_b64 v[29:30], v[30:31], off
	;; [unrolled: 1-line block ×4, first 2 shown]
	v_lshlrev_b64_e32 v[43:44], 3, v[43:44]
	v_mad_co_u64_u32 v[52:53], null, s5, v75, v[46:47]
	v_mad_co_u64_u32 v[53:54], null, s5, v76, v[49:50]
	v_mov_b32_e32 v51, v58
	v_mad_co_u64_u32 v[58:59], null, s4, v74, 0
	v_add_co_u32 v43, s0, v47, v43
	v_mov_b32_e32 v46, v52
	s_delay_alu instid0(VALU_DEP_4)
	v_lshlrev_b64_e32 v[49:50], 3, v[50:51]
	v_mov_b32_e32 v57, v53
	s_wait_alu 0xf1ff
	v_add_co_ci_u32_e64 v44, s0, v48, v44, s0
	v_lshlrev_b64_e32 v[45:46], 3, v[45:46]
	v_mov_b32_e32 v53, v59
	v_add_co_u32 v49, s0, v47, v49
	s_wait_alu 0xf1ff
	v_add_co_ci_u32_e64 v50, s0, v48, v50, s0
	v_lshlrev_b64_e32 v[51:52], 3, v[56:57]
	v_add_co_u32 v62, s0, v47, v45
	s_wait_alu 0xf1ff
	v_add_co_ci_u32_e64 v63, s0, v48, v46, s0
	v_mad_co_u64_u32 v[45:46], null, s5, v74, v[53:54]
	v_mov_b32_e32 v46, v61
	v_add_co_u32 v53, s0, v47, v51
	s_wait_alu 0xf1ff
	v_add_co_ci_u32_e64 v54, s0, v48, v52, s0
	s_delay_alu instid0(VALU_DEP_3)
	v_mad_co_u64_u32 v[99:100], null, s5, v72, v[46:47]
	v_mov_b32_e32 v59, v45
	s_clause 0x3
	global_load_b64 v[55:56], v[43:44], off
	global_load_b64 v[45:46], v[49:50], off
	;; [unrolled: 1-line block ×4, first 2 shown]
	v_mov_b32_e32 v49, v65
	v_mov_b32_e32 v107, v75
	;; [unrolled: 1-line block ×3, first 2 shown]
	v_lshlrev_b64_e32 v[53:54], 3, v[58:59]
	v_mad_co_u64_u32 v[57:58], null, s4, v68, 0
	v_mov_b32_e32 v61, v99
	v_mad_co_u64_u32 v[49:50], null, s5, v73, v[49:50]
	v_mad_co_u64_u32 v[99:100], null, s4, v67, 0
	s_delay_alu instid0(VALU_DEP_3) | instskip(SKIP_1) | instid1(VALU_DEP_4)
	v_lshlrev_b64_e32 v[59:60], 3, v[60:61]
	v_mad_co_u64_u32 v[61:62], null, s4, v71, 0
	v_dual_mov_b32 v50, v58 :: v_dual_mov_b32 v65, v49
	v_add_co_u32 v53, s0, v47, v53
	s_wait_alu 0xf1ff
	v_add_co_ci_u32_e64 v54, s0, v48, v54, s0
	v_add_co_u32 v59, s0, v47, v59
	s_wait_alu 0xf1ff
	v_add_co_ci_u32_e64 v60, s0, v48, v60, s0
	v_mov_b32_e32 v111, v77
	v_mov_b32_e32 v115, v78
	;; [unrolled: 1-line block ×10, first 2 shown]
	s_wait_loadcnt 0x1
	v_mad_co_u64_u32 v[49:50], null, s5, v68, v[50:51]
	v_mov_b32_e32 v50, v62
	v_lshlrev_b64_e32 v[62:63], 3, v[64:65]
	s_delay_alu instid0(VALU_DEP_2) | instskip(NEXT) | instid1(VALU_DEP_4)
	v_mad_co_u64_u32 v[64:65], null, s5, v71, v[50:51]
	v_dual_mov_b32 v58, v49 :: v_dual_mov_b32 v49, v100
	v_mad_co_u64_u32 v[65:66], null, s4, v69, 0
	s_delay_alu instid0(VALU_DEP_4) | instskip(NEXT) | instid1(VALU_DEP_3)
	v_add_co_u32 v103, s0, v47, v62
	v_mad_co_u64_u32 v[49:50], null, s5, v67, v[49:50]
	s_delay_alu instid0(VALU_DEP_4)
	v_lshlrev_b64_e32 v[57:58], 3, v[57:58]
	v_mov_b32_e32 v62, v64
	v_mov_b32_e32 v50, v66
	s_wait_alu 0xf1ff
	v_add_co_ci_u32_e64 v104, s0, v48, v63, s0
	v_mov_b32_e32 v100, v49
	s_delay_alu instid0(VALU_DEP_3)
	v_mad_co_u64_u32 v[49:50], null, s5, v69, v[50:51]
	v_mov_b32_e32 v50, v102
	v_add_co_u32 v63, s0, v47, v57
	s_wait_alu 0xf1ff
	v_add_co_ci_u32_e64 v64, s0, v48, v58, s0
	v_lshlrev_b64_e32 v[57:58], 3, v[61:62]
	v_mad_co_u64_u32 v[61:62], null, s5, v70, v[50:51]
	v_mov_b32_e32 v66, v49
	v_lshlrev_b64_e32 v[99:100], 3, v[99:100]
	s_delay_alu instid0(VALU_DEP_4) | instskip(NEXT) | instid1(VALU_DEP_3)
	v_add_co_u32 v105, s0, v47, v57
	v_lshlrev_b64_e32 v[49:50], 3, v[65:66]
	v_mov_b32_e32 v102, v61
	s_wait_alu 0xf1ff
	v_add_co_ci_u32_e64 v106, s0, v48, v58, s0
	v_add_co_u32 v61, s0, v47, v99
	s_delay_alu instid0(VALU_DEP_3)
	v_lshlrev_b64_e32 v[57:58], 3, v[101:102]
	s_wait_alu 0xf1ff
	v_add_co_ci_u32_e64 v62, s0, v48, v100, s0
	v_add_co_u32 v99, s0, v47, v49
	s_wait_alu 0xf1ff
	v_add_co_ci_u32_e64 v100, s0, v48, v50, s0
	v_add_co_u32 v101, s0, v47, v57
	s_wait_alu 0xf1ff
	v_add_co_ci_u32_e64 v102, s0, v48, v58, s0
	s_clause 0x7
	global_load_b64 v[57:58], v[53:54], off
	global_load_b64 v[49:50], v[59:60], off
	;; [unrolled: 1-line block ×8, first 2 shown]
	v_dual_mov_b32 v102, v70 :: v_dual_mov_b32 v103, v76
	v_dual_mov_b32 v104, v83 :: v_dual_mov_b32 v105, v91
	v_dual_mov_b32 v106, v69 :: v_dual_mov_b32 v101, v74
	v_dual_mov_b32 v100, v82 :: v_dual_mov_b32 v99, v90
.LBB0_6:
	s_or_b32 exec_lo, exec_lo, s1
	v_dual_sub_f32 v23, v3, v23 :: v_dual_sub_f32 v24, v4, v24
	v_dual_sub_f32 v25, v9, v25 :: v_dual_sub_f32 v26, v10, v26
	;; [unrolled: 1-line block ×4, first 2 shown]
	s_delay_alu instid0(VALU_DEP_4)
	v_fma_f32 v3, v3, 2.0, -v23
	v_fma_f32 v4, v4, 2.0, -v24
	;; [unrolled: 1-line block ×7, first 2 shown]
	s_delay_alu instid0(VALU_DEP_4)
	v_dual_sub_f32 v131, v3, v9 :: v_dual_sub_f32 v132, v4, v10
	v_fma_f32 v6, v6, 2.0, -v20
	v_dual_sub_f32 v26, v23, v26 :: v_dual_add_f32 v133, v25, v24
	v_dual_sub_f32 v134, v21, v20 :: v_dual_add_f32 v135, v19, v22
	v_sub_f32_e32 v20, v7, v5
	v_fma_f32 v3, v3, 2.0, -v131
	v_fma_f32 v9, v4, 2.0, -v132
	;; [unrolled: 1-line block ×3, first 2 shown]
	v_sub_f32_e32 v23, v8, v6
	v_fma_f32 v4, v7, 2.0, -v20
	v_fma_f32 v19, v21, 2.0, -v134
	;; [unrolled: 1-line block ×5, first 2 shown]
	v_sub_f32_e32 v4, v3, v4
	v_fmamk_f32 v5, v19, 0xbf3504f3, v10
	v_dual_sub_f32 v39, v17, v39 :: v_dual_sub_f32 v38, v12, v38
	v_fmamk_f32 v7, v21, 0xbf3504f3, v24
	s_delay_alu instid0(VALU_DEP_4) | instskip(SKIP_2) | instid1(VALU_DEP_4)
	v_fma_f32 v8, v3, 2.0, -v4
	v_dual_sub_f32 v3, v15, v41 :: v_dual_sub_f32 v40, v18, v40
	v_dual_sub_f32 v41, v16, v42 :: v_dual_sub_f32 v36, v14, v36
	v_dual_sub_f32 v6, v9, v6 :: v_dual_fmac_f32 v7, 0x3f3504f3, v19
	v_fmamk_f32 v22, v134, 0x3f3504f3, v26
	v_fmac_f32_e32 v5, 0xbf3504f3, v21
	v_sub_f32_e32 v21, v131, v23
	v_add_f32_e32 v23, v132, v20
	v_fma_f32 v15, v15, 2.0, -v3
	v_fma_f32 v16, v16, 2.0, -v41
	;; [unrolled: 1-line block ×3, first 2 shown]
	v_sub_f32_e32 v35, v13, v35
	v_fma_f32 v18, v18, 2.0, -v40
	v_sub_f32_e32 v37, v11, v37
	v_fma_f32 v20, v24, 2.0, -v7
	v_fmamk_f32 v24, v135, 0x3f3504f3, v133
	v_fma_f32 v25, v132, 2.0, -v23
	v_sub_f32_e32 v18, v16, v18
	v_fmac_f32_e32 v22, 0xbf3504f3, v135
	v_fma_f32 v14, v14, 2.0, -v36
	v_sub_f32_e32 v42, v15, v17
	v_fma_f32 v13, v13, 2.0, -v35
	v_fma_f32 v11, v11, 2.0, -v37
	;; [unrolled: 1-line block ×3, first 2 shown]
	v_sub_f32_e32 v132, v3, v40
	v_sub_f32_e32 v135, v35, v38
	v_fma_f32 v19, v9, 2.0, -v6
	v_fma_f32 v9, v10, 2.0, -v5
	v_sub_f32_e32 v38, v14, v12
	v_fmac_f32_e32 v24, 0x3f3504f3, v134
	v_fma_f32 v10, v131, 2.0, -v21
	v_sub_f32_e32 v131, v13, v11
	v_fma_f32 v3, v3, 2.0, -v132
	v_fma_f32 v35, v35, 2.0, -v135
	v_add_f32_e32 v136, v37, v36
	v_fma_f32 v40, v16, 2.0, -v18
	v_fma_f32 v12, v13, 2.0, -v131
	;; [unrolled: 1-line block ×3, first 2 shown]
	v_fmamk_f32 v13, v35, 0xbf3504f3, v3
	v_fma_f32 v16, v36, 2.0, -v136
	v_add_f32_e32 v134, v39, v41
	v_fma_f32 v17, v15, 2.0, -v42
	v_sub_f32_e32 v14, v40, v14
	v_dual_sub_f32 v38, v42, v38 :: v_dual_fmamk_f32 v39, v135, 0x3f3504f3, v132
	s_delay_alu instid0(VALU_DEP_4) | instskip(SKIP_1) | instid1(VALU_DEP_4)
	v_fma_f32 v37, v41, 2.0, -v134
	v_fmac_f32_e32 v13, 0xbf3504f3, v16
	v_fma_f32 v36, v40, 2.0, -v14
	s_delay_alu instid0(VALU_DEP_4) | instskip(NEXT) | instid1(VALU_DEP_4)
	v_dual_sub_f32 v46, v30, v46 :: v_dual_fmac_f32 v39, 0xbf3504f3, v136
	v_dual_fmamk_f32 v15, v16, 0xbf3504f3, v37 :: v_dual_sub_f32 v12, v17, v12
	v_dual_add_f32 v40, v18, v131 :: v_dual_fmamk_f32 v41, v136, 0x3f3504f3, v134
	s_wait_loadcnt 0x8
	s_delay_alu instid0(VALU_DEP_2) | instskip(NEXT) | instid1(VALU_DEP_3)
	v_dual_sub_f32 v44, v28, v44 :: v_dual_fmac_f32 v15, 0x3f3504f3, v35
	v_fma_f32 v16, v17, 2.0, -v12
	v_fma_f32 v17, v3, 2.0, -v13
	v_sub_f32_e32 v3, v33, v55
	v_fmac_f32_e32 v41, 0x3f3504f3, v135
	v_fma_f32 v131, v42, 2.0, -v38
	v_fma_f32 v42, v18, 2.0, -v40
	v_sub_f32_e32 v18, v34, v56
	v_fma_f32 v33, v33, 2.0, -v3
	v_fma_f32 v30, v30, 2.0, -v46
	;; [unrolled: 1-line block ×3, first 2 shown]
	v_sub_f32_e32 v35, v31, v51
	v_sub_f32_e32 v51, v32, v52
	v_fma_f32 v34, v34, 2.0, -v18
	v_fma_f32 v11, v26, 2.0, -v22
	;; [unrolled: 1-line block ×3, first 2 shown]
	s_wait_loadcnt 0x0
	v_dual_sub_f32 v63, v53, v63 :: v_dual_sub_f32 v62, v48, v62
	v_fma_f32 v32, v32, 2.0, -v51
	v_fma_f32 v132, v132, 2.0, -v39
	v_sub_f32_e32 v60, v50, v60
	s_delay_alu instid0(VALU_DEP_4)
	v_fma_f32 v53, v53, 2.0, -v63
	v_fma_f32 v48, v48, 2.0, -v62
	v_sub_f32_e32 v55, v34, v32
	v_sub_f32_e32 v32, v30, v28
	v_fma_f32 v31, v31, 2.0, -v35
	v_sub_f32_e32 v64, v54, v64
	v_fma_f32 v50, v50, 2.0, -v60
	v_fma_f32 v37, v37, 2.0, -v15
	s_delay_alu instid0(VALU_DEP_4) | instskip(SKIP_2) | instid1(VALU_DEP_3)
	v_sub_f32_e32 v52, v33, v31
	v_dual_sub_f32 v45, v29, v45 :: v_dual_sub_f32 v56, v3, v51
	v_fma_f32 v54, v54, 2.0, -v64
	v_fma_f32 v31, v33, 2.0, -v52
	s_delay_alu instid0(VALU_DEP_3) | instskip(NEXT) | instid1(VALU_DEP_4)
	v_sub_f32_e32 v133, v45, v44
	v_fma_f32 v3, v3, 2.0, -v56
	v_fma_f32 v29, v29, 2.0, -v45
	s_delay_alu instid0(VALU_DEP_3) | instskip(NEXT) | instid1(VALU_DEP_1)
	v_fma_f32 v33, v45, 2.0, -v133
	v_dual_sub_f32 v43, v27, v43 :: v_dual_fmamk_f32 v28, v33, 0xbf3504f3, v3
	s_delay_alu instid0(VALU_DEP_1) | instskip(SKIP_2) | instid1(VALU_DEP_3)
	v_add_f32_e32 v135, v43, v46
	v_fma_f32 v27, v27, 2.0, -v43
	v_fma_f32 v43, v134, 2.0, -v41
	;; [unrolled: 1-line block ×3, first 2 shown]
	s_delay_alu instid0(VALU_DEP_1) | instskip(NEXT) | instid1(VALU_DEP_4)
	v_dual_add_f32 v35, v35, v18 :: v_dual_fmac_f32 v28, 0xbf3504f3, v44
	v_sub_f32_e32 v51, v29, v27
	s_delay_alu instid0(VALU_DEP_2) | instskip(NEXT) | instid1(VALU_DEP_2)
	v_fma_f32 v18, v18, 2.0, -v35
	v_fma_f32 v27, v29, 2.0, -v51
	;; [unrolled: 1-line block ×3, first 2 shown]
	s_delay_alu instid0(VALU_DEP_3) | instskip(SKIP_1) | instid1(VALU_DEP_2)
	v_fmamk_f32 v30, v44, 0xbf3504f3, v18
	v_fma_f32 v34, v34, 2.0, -v55
	v_dual_sub_f32 v27, v31, v27 :: v_dual_fmac_f32 v30, 0x3f3504f3, v33
	v_sub_f32_e32 v33, v52, v32
	v_fma_f32 v32, v3, 2.0, -v28
	v_sub_f32_e32 v3, v57, v65
	v_sub_f32_e32 v29, v34, v29
	v_fma_f32 v45, v18, 2.0, -v30
	v_sub_f32_e32 v18, v58, v66
	v_fma_f32 v46, v52, 2.0, -v33
	v_fma_f32 v57, v57, 2.0, -v3
	;; [unrolled: 1-line block ×3, first 2 shown]
	v_fmamk_f32 v34, v133, 0x3f3504f3, v56
	v_fmamk_f32 v52, v135, 0x3f3504f3, v35
	v_add_f32_e32 v51, v55, v51
	v_dual_sub_f32 v65, v57, v53 :: v_dual_add_f32 v134, v63, v18
	v_fma_f32 v58, v58, 2.0, -v18
	s_delay_alu instid0(VALU_DEP_4) | instskip(SKIP_1) | instid1(VALU_DEP_4)
	v_dual_fmac_f32 v52, 0x3f3504f3, v133 :: v_dual_sub_f32 v59, v49, v59
	v_sub_f32_e32 v66, v3, v64
	v_fma_f32 v18, v18, 2.0, -v134
	v_sub_f32_e32 v61, v47, v61
	v_sub_f32_e32 v133, v58, v54
	v_fma_f32 v49, v49, 2.0, -v59
	v_fmac_f32_e32 v34, 0xbf3504f3, v135
	v_fma_f32 v57, v57, 2.0, -v65
	v_add_f32_e32 v136, v61, v60
	v_fma_f32 v3, v3, 2.0, -v66
	v_fma_f32 v58, v58, 2.0, -v133
	;; [unrolled: 1-line block ×5, first 2 shown]
	s_delay_alu instid0(VALU_DEP_1) | instskip(SKIP_2) | instid1(VALU_DEP_2)
	v_fmamk_f32 v54, v60, 0xbf3504f3, v18
	v_fma_f32 v47, v47, 2.0, -v61
	v_sub_f32_e32 v61, v50, v48
	v_sub_f32_e32 v63, v49, v47
	v_fma_f32 v47, v56, 2.0, -v34
	v_fma_f32 v56, v35, 2.0, -v52
	s_delay_alu instid0(VALU_DEP_3) | instskip(NEXT) | instid1(VALU_DEP_1)
	v_fma_f32 v48, v49, 2.0, -v63
	v_dual_sub_f32 v135, v59, v62 :: v_dual_sub_f32 v48, v57, v48
	s_delay_alu instid0(VALU_DEP_1) | instskip(SKIP_1) | instid1(VALU_DEP_3)
	v_fma_f32 v59, v59, 2.0, -v135
	v_fmamk_f32 v62, v135, 0x3f3504f3, v66
	v_fma_f32 v57, v57, 2.0, -v48
	s_delay_alu instid0(VALU_DEP_3) | instskip(SKIP_1) | instid1(VALU_DEP_4)
	v_fmac_f32_e32 v54, 0x3f3504f3, v59
	v_fma_f32 v50, v50, 2.0, -v61
	v_dual_fmamk_f32 v49, v59, 0xbf3504f3, v3 :: v_dual_fmac_f32 v62, 0xbf3504f3, v136
	v_dual_fmamk_f32 v64, v136, 0x3f3504f3, v134 :: v_dual_sub_f32 v61, v65, v61
	s_delay_alu instid0(VALU_DEP_3) | instskip(NEXT) | instid1(VALU_DEP_3)
	v_sub_f32_e32 v53, v58, v50
	v_fmac_f32_e32 v49, 0xbf3504f3, v60
	v_fma_f32 v60, v18, 2.0, -v54
	v_lshlrev_b32_e32 v18, 14, v130
	v_fmac_f32_e32 v64, 0x3f3504f3, v135
	v_fma_f32 v59, v58, 2.0, -v53
	v_fma_f32 v58, v3, 2.0, -v49
	v_add_f32_e32 v63, v133, v63
	v_add_nc_u32_e32 v3, 0, v18
	v_fma_f32 v65, v65, 2.0, -v61
	v_fma_f32 v66, v66, 2.0, -v62
	;; [unrolled: 1-line block ×3, first 2 shown]
	s_delay_alu instid0(VALU_DEP_4)
	v_lshl_add_u32 v50, v98, 5, v3
	v_lshl_add_u32 v151, v99, 5, v3
	ds_store_2addr_b64 v50, v[8:9], v[10:11] offset1:1
	ds_store_2addr_b64 v50, v[4:5], v[21:22] offset0:2 offset1:3
	v_lshlrev_b32_e32 v4, 2, v98
	v_lshl_add_u32 v152, v100, 5, v3
	v_lshl_add_u32 v8, v101, 5, v3
	ds_store_2addr_b64 v151, v[16:17], v[131:132] offset1:1
	ds_store_2addr_b64 v151, v[12:13], v[38:39] offset0:2 offset1:3
	ds_store_2addr_b64 v152, v[31:32], v[46:47] offset1:1
	ds_store_2addr_b64 v152, v[27:28], v[33:34] offset0:2 offset1:3
	v_add3_u32 v32, 0, v4, v18
	v_add_nc_u32_e32 v31, v3, v4
	v_and_b32_e32 v4, 7, v0
	v_mad_i32_i24 v33, 0xffffffe4, v100, v152
	v_lshl_add_u32 v34, v99, 2, v3
	v_mad_i32_i24 v35, 0xffffffe4, v101, v8
	ds_store_2addr_b64 v8, v[57:58], v[65:66] offset1:1
	ds_store_2addr_b64 v8, v[48:49], v[61:62] offset0:2 offset1:3
	global_wb scope:SCOPE_SE
	s_wait_dscnt 0x0
	s_barrier_signal -1
	s_barrier_wait -1
	global_inv scope:SCOPE_SE
	ds_load_2addr_stride64_b32 v[46:47], v32 offset0:8 offset1:10
	ds_load_2addr_stride64_b32 v[48:49], v32 offset0:12 offset1:14
	;; [unrolled: 1-line block ×14, first 2 shown]
	ds_load_b32 v163, v31
	ds_load_b32 v164, v33
	;; [unrolled: 1-line block ×4, first 2 shown]
	global_wb scope:SCOPE_SE
	s_wait_dscnt 0x0
	s_barrier_signal -1
	s_barrier_wait -1
	global_inv scope:SCOPE_SE
	ds_store_2addr_b64 v50, v[19:20], v[25:26] offset1:1
	ds_store_2addr_b64 v50, v[6:7], v[23:24] offset0:2 offset1:3
	ds_store_2addr_b64 v151, v[36:37], v[42:43] offset1:1
	ds_store_2addr_b64 v151, v[14:15], v[40:41] offset0:2 offset1:3
	v_mul_u32_u24_e32 v6, 15, v4
	v_fma_f32 v133, v133, 2.0, -v63
	ds_store_2addr_b64 v152, v[44:45], v[55:56] offset1:1
	ds_store_2addr_b64 v152, v[29:30], v[51:52] offset0:2 offset1:3
	ds_store_2addr_b64 v8, v[59:60], v[133:134] offset1:1
	ds_store_2addr_b64 v8, v[53:54], v[63:64] offset0:2 offset1:3
	v_lshlrev_b32_e32 v30, 3, v6
	global_wb scope:SCOPE_SE
	s_wait_dscnt 0x0
	s_barrier_signal -1
	s_barrier_wait -1
	global_inv scope:SCOPE_SE
	s_clause 0x7
	global_load_b128 v[6:9], v30, s[8:9]
	global_load_b128 v[10:13], v30, s[8:9] offset:16
	global_load_b128 v[14:17], v30, s[8:9] offset:32
	;; [unrolled: 1-line block ×6, first 2 shown]
	global_load_b64 v[40:41], v30, s[8:9] offset:112
	ds_load_b32 v30, v33
	ds_load_2addr_stride64_b32 v[42:43], v32 offset0:12 offset1:14
	ds_load_2addr_stride64_b32 v[44:45], v32 offset0:16 offset1:18
	ds_load_b32 v56, v34
	ds_load_b32 v134, v35
	;; [unrolled: 1-line block ×3, first 2 shown]
	ds_load_2addr_stride64_b32 v[50:51], v32 offset0:8 offset1:10
	ds_load_2addr_stride64_b32 v[52:53], v32 offset0:20 offset1:22
	;; [unrolled: 1-line block ×12, first 2 shown]
	global_wb scope:SCOPE_SE
	s_wait_loadcnt_dscnt 0x0
	s_barrier_signal -1
	s_barrier_wait -1
	global_inv scope:SCOPE_SE
	v_lshl_add_u32 v128, v128, 2, v3
	v_lshl_add_u32 v127, v127, 2, v3
	;; [unrolled: 1-line block ×22, first 2 shown]
	v_lshlrev_b32_e32 v0, 4, v0
	s_delay_alu instid0(VALU_DEP_1) | instskip(NEXT) | instid1(VALU_DEP_1)
	v_and_or_b32 v0, 0x780, v0, v4
	v_lshl_add_u32 v0, v0, 2, v3
	v_dual_mul_f32 v170, v164, v7 :: v_dual_mul_f32 v173, v45, v13
	v_dual_mul_f32 v171, v48, v11 :: v_dual_mul_f32 v174, v57, v13
	;; [unrolled: 1-line block ×7, first 2 shown]
	v_mul_f32_e32 v168, v42, v11
	v_mul_f32_e32 v169, v43, v11
	v_dual_mul_f32 v11, v49, v11 :: v_dual_mul_f32 v176, v46, v9
	v_dual_mul_f32 v13, v58, v13 :: v_dual_mul_f32 v178, v61, v15
	;; [unrolled: 1-line block ×5, first 2 shown]
	v_dual_mul_f32 v185, v63, v21 :: v_dual_fmac_f32 v174, v44, v12
	v_dual_mul_f32 v193, v51, v9 :: v_dual_fmac_f32 v188, v132, v22
	;; [unrolled: 1-line block ×3, first 2 shown]
	v_dual_fmac_f32 v171, v42, v10 :: v_dual_fmac_f32 v186, v63, v20
	v_fma_f32 v42, v58, v12, -v173
	v_dual_fmac_f32 v181, v54, v16 :: v_dual_mul_f32 v54, v155, v29
	v_dual_fmac_f32 v17, v55, v16 :: v_dual_mul_f32 v58, v60, v19
	v_mul_f32_e32 v55, v134, v7
	v_mul_f32_e32 v7, v165, v7
	;; [unrolled: 1-line block ×3, first 2 shown]
	v_dual_mul_f32 v187, v132, v23 :: v_dual_fmac_f32 v170, v30, v6
	v_dual_mul_f32 v189, v151, v25 :: v_dual_fmac_f32 v178, v52, v14
	;; [unrolled: 1-line block ×3, first 2 shown]
	v_fma_f32 v48, v48, v10, -v168
	v_fma_f32 v49, v49, v10, -v169
	v_fmac_f32_e32 v11, v43, v10
	v_fma_f32 v10, v57, v12, -v172
	v_dual_fmac_f32 v13, v45, v12 :: v_dual_fmac_f32 v184, v59, v18
	v_fma_f32 v12, v61, v14, -v177
	v_fma_f32 v43, v62, v14, -v179
	v_dual_fmac_f32 v15, v53, v14 :: v_dual_fmac_f32 v190, v151, v24
	v_fma_f32 v14, v65, v16, -v180
	v_fma_f32 v44, v66, v16, -v183
	;; [unrolled: 1-line block ×7, first 2 shown]
	v_dual_fmac_f32 v9, v51, v8 :: v_dual_mul_f32 v62, v149, v41
	v_fma_f32 v8, v143, v28, -v54
	v_fma_f32 v54, v165, v6, -v55
	;; [unrolled: 1-line block ×3, first 2 shown]
	v_mul_f32_e32 v61, v161, v41
	s_delay_alu instid0(VALU_DEP_4) | instskip(SKIP_4) | instid1(VALU_DEP_3)
	v_dual_fmac_f32 v19, v60, v18 :: v_dual_sub_f32 v8, v10, v8
	v_dual_mul_f32 v18, v64, v21 :: v_dual_fmac_f32 v7, v134, v6
	v_mul_f32_e32 v6, v145, v37
	v_dual_mul_f32 v21, v136, v21 :: v_dual_sub_f32 v130, v170, v188
	v_dual_mul_f32 v51, v143, v29 :: v_dual_fmac_f32 v62, v161, v40
	v_fmac_f32_e32 v6, v157, v36
	v_fma_f32 v60, v149, v40, -v61
	v_fma_f32 v18, v136, v20, -v18
	v_fmac_f32_e32 v21, v64, v20
	v_mul_f32_e32 v20, v152, v25
	v_dual_sub_f32 v6, v178, v6 :: v_dual_mul_f32 v25, v140, v25
	v_sub_f32_e32 v60, v45, v60
	v_fma_f32 v52, v139, v24, -v189
	v_fmac_f32_e32 v51, v155, v28
	v_fma_f32 v20, v140, v24, -v20
	v_fma_f32 v10, v10, 2.0, -v8
	v_dual_fmac_f32 v25, v152, v24 :: v_dual_mul_f32 v24, v142, v27
	v_mul_f32_e32 v57, v159, v39
	v_fma_f32 v50, v137, v22, -v187
	v_mul_f32_e32 v55, v157, v37
	v_dual_mul_f32 v61, v133, v23 :: v_dual_sub_f32 v64, v176, v190
	s_delay_alu instid0(VALU_DEP_3) | instskip(SKIP_2) | instid1(VALU_DEP_4)
	v_dual_mul_f32 v23, v138, v23 :: v_dual_sub_f32 v50, v16, v50
	v_fmac_f32_e32 v24, v154, v26
	v_fma_f32 v57, v147, v38, -v57
	v_fma_f32 v61, v138, v22, -v61
	s_delay_alu instid0(VALU_DEP_4) | instskip(SKIP_1) | instid1(VALU_DEP_4)
	v_dual_fmac_f32 v23, v133, v22 :: v_dual_mul_f32 v22, v154, v27
	v_fma_f32 v55, v145, v36, -v55
	v_sub_f32_e32 v57, v14, v57
	v_fma_f32 v53, v141, v26, -v191
	v_dual_mul_f32 v63, v158, v37 :: v_dual_sub_f32 v62, v184, v62
	v_fma_f32 v22, v142, v26, -v22
	s_delay_alu instid0(VALU_DEP_4)
	v_fma_f32 v14, v14, 2.0, -v57
	v_mul_f32_e32 v27, v156, v29
	v_add_f32_e32 v57, v64, v57
	v_sub_f32_e32 v55, v12, v55
	v_mul_f32_e32 v29, v144, v29
	v_fma_f32 v16, v16, 2.0, -v50
	v_fma_f32 v26, v144, v28, -v27
	v_mul_f32_e32 v59, v147, v39
	v_fma_f32 v12, v12, 2.0, -v55
	v_mul_f32_e32 v27, v146, v37
	v_fma_f32 v132, v170, 2.0, -v130
	v_sub_f32_e32 v53, v48, v53
	v_fma_f32 v134, v178, 2.0, -v6
	v_sub_f32_e32 v12, v16, v12
	v_fmac_f32_e32 v27, v158, v36
	v_dual_sub_f32 v6, v50, v6 :: v_dual_fmac_f32 v29, v156, v28
	v_fma_f32 v28, v146, v36, -v63
	v_mul_f32_e32 v36, v162, v41
	v_mul_f32_e32 v41, v150, v41
	v_sub_f32_e32 v52, v30, v52
	v_fma_f32 v66, v176, 2.0, -v64
	v_fma_f32 v64, v64, 2.0, -v57
	v_fma_f32 v36, v150, v40, -v36
	v_fmac_f32_e32 v41, v162, v40
	v_sub_f32_e32 v40, v166, v186
	v_fmac_f32_e32 v59, v159, v38
	v_fma_f32 v30, v30, 2.0, -v52
	v_fma_f32 v48, v48, 2.0, -v53
	;; [unrolled: 1-line block ×5, first 2 shown]
	v_sub_f32_e32 v14, v30, v14
	v_sub_f32_e32 v51, v174, v51
	;; [unrolled: 1-line block ×4, first 2 shown]
	v_add_f32_e32 v8, v40, v8
	v_fma_f32 v30, v30, 2.0, -v14
	v_fma_f32 v65, v174, 2.0, -v51
	;; [unrolled: 1-line block ×3, first 2 shown]
	v_sub_f32_e32 v59, v181, v59
	v_fma_f32 v135, v171, 2.0, -v133
	v_fma_f32 v136, v184, 2.0, -v62
	s_delay_alu instid0(VALU_DEP_4)
	v_dual_sub_f32 v65, v63, v65 :: v_dual_sub_f32 v48, v16, v48
	v_mul_f32_e32 v37, v160, v39
	v_dual_mul_f32 v39, v148, v39 :: v_dual_add_f32 v60, v133, v60
	v_fma_f32 v131, v181, 2.0, -v59
	v_fma_f32 v40, v40, 2.0, -v8
	;; [unrolled: 1-line block ×3, first 2 shown]
	v_dual_sub_f32 v59, v52, v59 :: v_dual_sub_f32 v136, v135, v136
	v_fma_f32 v37, v148, v38, -v37
	s_delay_alu instid0(VALU_DEP_4) | instskip(SKIP_1) | instid1(VALU_DEP_4)
	v_fmamk_f32 v138, v64, 0xbf3504f3, v40
	v_add_f32_e32 v14, v65, v14
	v_fma_f32 v52, v52, 2.0, -v59
	v_fmac_f32_e32 v39, v160, v38
	v_sub_f32_e32 v38, v163, v46
	v_sub_f32_e32 v134, v132, v134
	;; [unrolled: 1-line block ×3, first 2 shown]
	v_fmac_f32_e32 v138, 0x3f3504f3, v52
	v_fma_f32 v50, v50, 2.0, -v6
	v_fma_f32 v46, v163, 2.0, -v38
	v_sub_f32_e32 v51, v38, v51
	v_fma_f32 v132, v132, 2.0, -v134
	v_fma_f32 v135, v135, 2.0, -v136
	;; [unrolled: 1-line block ×3, first 2 shown]
	v_sub_f32_e32 v10, v46, v10
	v_fma_f32 v38, v38, 2.0, -v51
	v_fma_f32 v63, v63, 2.0, -v65
	v_add_f32_e32 v45, v134, v45
	v_sub_f32_e32 v26, v42, v26
	v_fma_f32 v46, v46, 2.0, -v10
	v_fma_f32 v40, v40, 2.0, -v138
	v_sub_f32_e32 v20, v47, v20
	v_sub_f32_e32 v22, v49, v22
	v_fma_f32 v42, v42, 2.0, -v26
	v_dual_sub_f32 v30, v46, v30 :: v_dual_fmamk_f32 v137, v52, 0xbf3504f3, v38
	v_dual_sub_f32 v21, v56, v21 :: v_dual_sub_f32 v28, v43, v28
	v_sub_f32_e32 v24, v11, v24
	s_delay_alu instid0(VALU_DEP_3) | instskip(NEXT) | instid1(VALU_DEP_4)
	v_fma_f32 v46, v46, 2.0, -v30
	v_fmac_f32_e32 v137, 0xbf3504f3, v64
	v_fma_f32 v64, v133, 2.0, -v60
	v_dual_fmamk_f32 v133, v57, 0x3f3504f3, v8 :: v_dual_sub_f32 v36, v58, v36
	s_delay_alu instid0(VALU_DEP_4) | instskip(SKIP_2) | instid1(VALU_DEP_4)
	v_sub_f32_e32 v16, v46, v16
	v_fmamk_f32 v52, v59, 0x3f3504f3, v51
	v_fma_f32 v38, v38, 2.0, -v137
	v_fmac_f32_e32 v133, 0x3f3504f3, v59
	v_fmamk_f32 v59, v53, 0xbf3504f3, v50
	v_sub_f32_e32 v29, v13, v29
	v_dual_fmac_f32 v52, 0xbf3504f3, v57 :: v_dual_add_f32 v55, v130, v55
	v_fma_f32 v57, v65, 2.0, -v14
	v_sub_f32_e32 v65, v132, v135
	v_fmac_f32_e32 v59, 0xbf3504f3, v64
	v_fma_f32 v8, v8, 2.0, -v133
	v_fma_f32 v130, v130, 2.0, -v55
	v_sub_f32_e32 v23, v7, v23
	v_fma_f32 v58, v58, 2.0, -v36
	v_add_f32_e32 v36, v24, v36
	v_fma_f32 v50, v50, 2.0, -v59
	v_fmamk_f32 v135, v64, 0xbf3504f3, v130
	v_fma_f32 v64, v132, 2.0, -v65
	v_dual_sub_f32 v131, v66, v131 :: v_dual_sub_f32 v132, v12, v136
	v_fmamk_f32 v136, v60, 0x3f3504f3, v55
	s_delay_alu instid0(VALU_DEP_4) | instskip(SKIP_1) | instid1(VALU_DEP_4)
	v_fmac_f32_e32 v135, 0x3f3504f3, v53
	v_fmamk_f32 v53, v62, 0x3f3504f3, v6
	v_fma_f32 v66, v66, 2.0, -v131
	v_fma_f32 v12, v12, 2.0, -v132
	v_fmac_f32_e32 v136, 0x3f3504f3, v62
	v_fma_f32 v130, v130, 2.0, -v135
	s_delay_alu instid0(VALU_DEP_4) | instskip(SKIP_2) | instid1(VALU_DEP_4)
	v_dual_fmac_f32 v53, 0xbf3504f3, v60 :: v_dual_sub_f32 v66, v63, v66
	v_fma_f32 v60, v134, 2.0, -v45
	v_fma_f32 v51, v51, 2.0, -v52
	v_fmamk_f32 v134, v130, 0xbf6c835e, v40
	s_delay_alu instid0(VALU_DEP_4) | instskip(SKIP_2) | instid1(VALU_DEP_4)
	v_fma_f32 v6, v6, 2.0, -v53
	v_fma_f32 v63, v63, 2.0, -v66
	v_dual_fmamk_f32 v139, v60, 0xbf3504f3, v57 :: v_dual_add_f32 v48, v66, v48
	v_dual_fmac_f32 v134, 0x3ec3ef15, v50 :: v_dual_sub_f32 v37, v44, v37
	s_delay_alu instid0(VALU_DEP_3) | instskip(SKIP_3) | instid1(VALU_DEP_4)
	v_dual_sub_f32 v62, v63, v64 :: v_dual_sub_f32 v131, v10, v131
	v_fmamk_f32 v64, v50, 0xbf6c835e, v38
	v_fmamk_f32 v50, v6, 0xbec3ef15, v51
	v_dual_fmac_f32 v139, 0x3f3504f3, v12 :: v_dual_add_f32 v26, v21, v26
	v_fma_f32 v10, v10, 2.0, -v131
	s_delay_alu instid0(VALU_DEP_4)
	v_fmac_f32_e32 v64, 0xbec3ef15, v130
	v_fma_f32 v55, v55, 2.0, -v136
	v_sub_f32_e32 v25, v9, v25
	v_fma_f32 v47, v47, 2.0, -v20
	v_fmamk_f32 v130, v12, 0xbf3504f3, v10
	v_sub_f32_e32 v12, v30, v65
	v_fmac_f32_e32 v50, 0xbf6c835e, v55
	v_fma_f32 v43, v43, 2.0, -v28
	v_fma_f32 v49, v49, 2.0, -v22
	v_fmac_f32_e32 v130, 0xbf3504f3, v60
	v_fmamk_f32 v60, v55, 0xbec3ef15, v8
	v_fma_f32 v55, v40, 2.0, -v134
	v_fmamk_f32 v40, v59, 0x3ec3ef15, v137
	v_add_f32_e32 v28, v23, v28
	v_fma_f32 v44, v44, 2.0, -v37
	v_fmac_f32_e32 v60, 0x3f6c835e, v6
	v_fma_f32 v6, v51, 2.0, -v50
	v_sub_f32_e32 v39, v17, v39
	v_dual_sub_f32 v61, v54, v61 :: v_dual_sub_f32 v58, v49, v58
	s_delay_alu instid0(VALU_DEP_4)
	v_fma_f32 v65, v8, 2.0, -v60
	v_fma_f32 v8, v30, 2.0, -v12
	;; [unrolled: 1-line block ×3, first 2 shown]
	v_fmamk_f32 v66, v45, 0x3f3504f3, v14
	v_fmamk_f32 v140, v136, 0x3f6c835e, v133
	v_dual_sub_f32 v44, v47, v44 :: v_dual_add_f32 v37, v25, v37
	v_fma_f32 v13, v13, 2.0, -v29
	s_delay_alu instid0(VALU_DEP_4)
	v_fmac_f32_e32 v66, 0x3f3504f3, v132
	v_fmamk_f32 v51, v135, 0x3ec3ef15, v138
	v_fmac_f32_e32 v40, 0xbf6c835e, v135
	v_fmac_f32_e32 v140, 0x3ec3ef15, v53
	v_fma_f32 v9, v9, 2.0, -v25
	v_fma_f32 v17, v17, 2.0, -v39
	v_fmac_f32_e32 v51, 0x3f6c835e, v59
	v_fmamk_f32 v59, v132, 0x3f3504f3, v131
	v_fma_f32 v135, v137, 2.0, -v40
	v_fmamk_f32 v137, v53, 0x3f6c835e, v52
	v_fma_f32 v25, v25, 2.0, -v37
	v_sub_f32_e32 v39, v20, v39
	v_fmac_f32_e32 v59, 0xbf3504f3, v45
	v_fma_f32 v56, v56, 2.0, -v21
	v_fmac_f32_e32 v137, 0xbec3ef15, v136
	v_fma_f32 v21, v21, 2.0, -v26
	v_fma_f32 v20, v20, 2.0, -v39
	;; [unrolled: 1-line block ×4, first 2 shown]
	v_sub_f32_e32 v14, v5, v18
	v_fma_f32 v18, v52, 2.0, -v137
	v_fma_f32 v52, v133, 2.0, -v140
	v_fmamk_f32 v133, v25, 0xbf3504f3, v21
	v_fma_f32 v7, v7, 2.0, -v23
	v_sub_f32_e32 v29, v14, v29
	v_fma_f32 v5, v5, 2.0, -v14
	v_fma_f32 v54, v54, 2.0, -v61
	v_fmac_f32_e32 v133, 0x3f3504f3, v20
	v_fma_f32 v49, v49, 2.0, -v58
	v_fma_f32 v14, v14, 2.0, -v29
	v_dual_sub_f32 v27, v15, v27 :: v_dual_sub_f32 v42, v5, v42
	v_fma_f32 v47, v47, 2.0, -v44
	v_fma_f32 v45, v138, 2.0, -v51
	s_delay_alu instid0(VALU_DEP_4) | instskip(NEXT) | instid1(VALU_DEP_4)
	v_fmamk_f32 v132, v20, 0xbf3504f3, v14
	v_fma_f32 v15, v15, 2.0, -v27
	v_fma_f32 v5, v5, 2.0, -v42
	v_sub_f32_e32 v27, v61, v27
	v_fma_f32 v11, v11, 2.0, -v24
	v_fmac_f32_e32 v132, 0xbf3504f3, v25
	v_dual_sub_f32 v13, v56, v13 :: v_dual_fmamk_f32 v20, v39, 0x3f3504f3, v29
	v_sub_f32_e32 v17, v9, v17
	v_sub_f32_e32 v15, v7, v15
	s_delay_alu instid0(VALU_DEP_3) | instskip(SKIP_1) | instid1(VALU_DEP_4)
	v_dual_sub_f32 v41, v19, v41 :: v_dual_add_f32 v44, v13, v44
	v_fma_f32 v56, v56, 2.0, -v13
	v_fma_f32 v9, v9, 2.0, -v17
	s_delay_alu instid0(VALU_DEP_4) | instskip(SKIP_2) | instid1(VALU_DEP_4)
	v_dual_add_f32 v58, v15, v58 :: v_dual_sub_f32 v43, v54, v43
	v_fmac_f32_e32 v20, 0xbf3504f3, v37
	v_fma_f32 v13, v13, 2.0, -v44
	v_sub_f32_e32 v9, v56, v9
	v_fma_f32 v19, v19, 2.0, -v41
	v_fma_f32 v54, v54, 2.0, -v43
	;; [unrolled: 1-line block ×5, first 2 shown]
	v_fmamk_f32 v56, v37, 0x3f3504f3, v26
	v_fma_f32 v24, v24, 2.0, -v36
	v_fma_f32 v21, v21, 2.0, -v133
	;; [unrolled: 1-line block ×4, first 2 shown]
	v_dual_fmac_f32 v56, 0x3f3504f3, v39 :: v_dual_sub_f32 v17, v42, v17
	v_fma_f32 v46, v46, 2.0, -v16
	v_fma_f32 v38, v38, 2.0, -v64
	v_fma_f32 v10, v10, 2.0, -v130
	v_fma_f32 v63, v63, 2.0, -v62
	v_fma_f32 v37, v42, 2.0, -v17
	v_sub_f32_e32 v42, v54, v49
	v_fma_f32 v7, v7, 2.0, -v15
	v_fma_f32 v15, v15, 2.0, -v58
	v_sub_f32_e32 v47, v5, v47
	v_fmamk_f32 v49, v24, 0xbf3504f3, v23
	ds_store_2addr_b32 v0, v46, v38 offset1:8
	ds_store_2addr_b32 v0, v10, v6 offset0:16 offset1:24
	ds_store_2addr_b32 v0, v8, v135 offset0:32 offset1:40
	ds_store_2addr_b32 v0, v53, v18 offset0:48 offset1:56
	v_fma_f32 v57, v57, 2.0, -v139
	v_fmamk_f32 v138, v15, 0xbf3504f3, v13
	v_fma_f32 v5, v5, 2.0, -v47
	v_sub_f32_e32 v41, v22, v41
	s_delay_alu instid0(VALU_DEP_1) | instskip(NEXT) | instid1(VALU_DEP_1)
	v_fma_f32 v22, v22, 2.0, -v41
	v_fmamk_f32 v39, v22, 0xbf3504f3, v61
	v_fmac_f32_e32 v49, 0x3f3504f3, v22
	s_delay_alu instid0(VALU_DEP_2) | instskip(SKIP_2) | instid1(VALU_DEP_4)
	v_fmac_f32_e32 v39, 0xbf3504f3, v24
	v_fma_f32 v24, v26, 2.0, -v56
	v_fma_f32 v26, v54, 2.0, -v42
	;; [unrolled: 1-line block ×3, first 2 shown]
	s_delay_alu instid0(VALU_DEP_4) | instskip(NEXT) | instid1(VALU_DEP_3)
	v_fma_f32 v22, v61, 2.0, -v39
	v_dual_fmamk_f32 v61, v36, 0x3f3504f3, v28 :: v_dual_sub_f32 v26, v5, v26
	v_dual_sub_f32 v19, v11, v19 :: v_dual_fmamk_f32 v54, v41, 0x3f3504f3, v27
	s_delay_alu instid0(VALU_DEP_2) | instskip(NEXT) | instid1(VALU_DEP_2)
	v_fma_f32 v5, v5, 2.0, -v26
	v_fma_f32 v11, v11, 2.0, -v19
	s_delay_alu instid0(VALU_DEP_3) | instskip(SKIP_2) | instid1(VALU_DEP_3)
	v_dual_sub_f32 v19, v43, v19 :: v_dual_fmac_f32 v54, 0xbf3504f3, v36
	v_fmac_f32_e32 v61, 0x3f3504f3, v41
	v_fmamk_f32 v41, v22, 0xbf6c835e, v14
	v_fma_f32 v36, v43, 2.0, -v19
	s_delay_alu instid0(VALU_DEP_4) | instskip(NEXT) | instid1(VALU_DEP_4)
	v_fma_f32 v27, v27, 2.0, -v54
	v_fma_f32 v28, v28, 2.0, -v61
	v_fmamk_f32 v43, v23, 0xbf6c835e, v21
	v_fmac_f32_e32 v41, 0xbec3ef15, v23
	v_fmac_f32_e32 v138, 0x3f3504f3, v36
	v_fmamk_f32 v23, v36, 0xbf3504f3, v37
	v_fmamk_f32 v141, v28, 0xbec3ef15, v24
	v_fmac_f32_e32 v43, 0x3ec3ef15, v22
	v_fmamk_f32 v22, v27, 0xbec3ef15, v29
	v_sub_f32_e32 v11, v7, v11
	v_fma_f32 v143, v13, 2.0, -v138
	v_fmamk_f32 v13, v39, 0x3ec3ef15, v132
	v_fmac_f32_e32 v141, 0x3f6c835e, v27
	v_fmac_f32_e32 v22, 0xbf6c835e, v28
	v_fma_f32 v7, v7, 2.0, -v11
	v_dual_sub_f32 v11, v47, v11 :: v_dual_add_f32 v42, v9, v42
	v_fmac_f32_e32 v13, 0xbf6c835e, v49
	v_fmamk_f32 v144, v49, 0x3ec3ef15, v133
	v_fma_f32 v49, v24, 2.0, -v141
	s_delay_alu instid0(VALU_DEP_4)
	v_fma_f32 v24, v47, 2.0, -v11
	v_fma_f32 v47, v9, 2.0, -v42
	;; [unrolled: 1-line block ×3, first 2 shown]
	v_fmamk_f32 v132, v58, 0x3f3504f3, v44
	v_fmamk_f32 v27, v54, 0x3f6c835e, v20
	v_sub_f32_e32 v7, v25, v7
	v_fmac_f32_e32 v23, 0xbf3504f3, v15
	v_fma_f32 v14, v14, 2.0, -v41
	v_fmac_f32_e32 v132, 0x3f3504f3, v19
	v_fmac_f32_e32 v27, 0xbec3ef15, v61
	v_fma_f32 v136, v25, 2.0, -v7
	v_fmamk_f32 v25, v19, 0x3f3504f3, v17
	v_fmamk_f32 v145, v61, 0x3f6c835e, v56
	v_fma_f32 v142, v21, 2.0, -v43
	v_fma_f32 v19, v20, 2.0, -v27
	s_delay_alu instid0(VALU_DEP_4) | instskip(SKIP_3) | instid1(VALU_DEP_4)
	v_dual_fmac_f32 v25, 0xbf3504f3, v58 :: v_dual_lshlrev_b32 v20, 4, v99
	v_fma_f32 v15, v37, 2.0, -v23
	v_fma_f32 v21, v29, 2.0, -v22
	v_fmac_f32_e32 v144, 0x3f6c835e, v39
	v_and_or_b32 v4, 0xf80, v20, v4
	v_fma_f32 v17, v17, 2.0, -v25
	v_fma_f32 v44, v44, 2.0, -v132
	s_delay_alu instid0(VALU_DEP_4) | instskip(NEXT) | instid1(VALU_DEP_4)
	v_fma_f32 v133, v133, 2.0, -v144
	v_lshl_add_u32 v4, v4, 2, v3
	ds_store_2addr_b32 v0, v16, v64 offset0:64 offset1:72
	ds_store_2addr_b32 v0, v130, v50 offset0:80 offset1:88
	ds_store_2addr_b32 v0, v12, v40 offset0:96 offset1:104
	ds_store_2addr_b32 v0, v59, v137 offset0:112 offset1:120
	ds_store_2addr_b32 v4, v5, v14 offset1:8
	ds_store_2addr_b32 v4, v15, v21 offset0:16 offset1:24
	ds_store_2addr_b32 v4, v24, v9 offset0:32 offset1:40
	;; [unrolled: 1-line block ×7, first 2 shown]
	global_wb scope:SCOPE_SE
	s_wait_dscnt 0x0
	s_barrier_signal -1
	s_barrier_wait -1
	global_inv scope:SCOPE_SE
	ds_load_b32 v137, v31
	ds_load_2addr_stride64_b32 v[8:9], v32 offset0:16 offset1:18
	ds_load_2addr_stride64_b32 v[10:11], v32 offset0:32 offset1:34
	;; [unrolled: 1-line block ×3, first 2 shown]
	ds_load_b32 v146, v35
	ds_load_b32 v147, v34
	;; [unrolled: 1-line block ×3, first 2 shown]
	ds_load_2addr_stride64_b32 v[14:15], v32 offset0:20 offset1:22
	ds_load_2addr_stride64_b32 v[16:17], v32 offset0:36 offset1:38
	;; [unrolled: 1-line block ×11, first 2 shown]
	v_fmac_f32_e32 v145, 0x3ec3ef15, v54
	global_wb scope:SCOPE_SE
	s_wait_dscnt 0x0
	s_barrier_signal -1
	s_barrier_wait -1
	global_inv scope:SCOPE_SE
	v_fma_f32 v54, v56, 2.0, -v145
	ds_store_2addr_b32 v0, v63, v55 offset1:8
	ds_store_2addr_b32 v0, v57, v65 offset0:16 offset1:24
	ds_store_2addr_b32 v0, v30, v45 offset0:32 offset1:40
	;; [unrolled: 1-line block ×7, first 2 shown]
	ds_store_2addr_b32 v4, v136, v142 offset1:8
	ds_store_2addr_b32 v4, v143, v49 offset0:16 offset1:24
	ds_store_2addr_b32 v4, v47, v133 offset0:32 offset1:40
	ds_store_2addr_b32 v4, v44, v54 offset0:48 offset1:56
	v_mul_u32_u24_e32 v0, 3, v98
	ds_store_2addr_b32 v4, v7, v43 offset0:64 offset1:72
	ds_store_2addr_b32 v4, v138, v141 offset0:80 offset1:88
	;; [unrolled: 1-line block ×4, first 2 shown]
	global_wb scope:SCOPE_SE
	s_wait_dscnt 0x0
	s_barrier_signal -1
	s_barrier_wait -1
	v_lshlrev_b32_e32 v0, 3, v0
	global_inv scope:SCOPE_SE
	s_clause 0x1
	global_load_b128 v[4:7], v0, s[8:9] offset:960
	global_load_b64 v[42:43], v0, s[8:9] offset:976
	ds_load_2addr_stride64_b32 v[44:45], v32 offset0:16 offset1:18
	ds_load_2addr_stride64_b32 v[46:47], v32 offset0:32 offset1:34
	ds_load_b32 v0, v31
	ds_load_2addr_stride64_b32 v[48:49], v32 offset0:48 offset1:50
	ds_load_b32 v30, v35
	ds_load_b32 v66, v34
	;; [unrolled: 1-line block ×3, first 2 shown]
	ds_load_2addr_stride64_b32 v[50:51], v32 offset0:20 offset1:22
	ds_load_2addr_stride64_b32 v[52:53], v32 offset0:36 offset1:38
	;; [unrolled: 1-line block ×11, first 2 shown]
	global_wb scope:SCOPE_SE
	s_wait_loadcnt_dscnt 0x0
	s_barrier_signal -1
	s_barrier_wait -1
	global_inv scope:SCOPE_SE
	v_mul_f32_e32 v139, v8, v5
	v_mul_f32_e32 v138, v44, v5
	;; [unrolled: 1-line block ×4, first 2 shown]
	s_delay_alu instid0(VALU_DEP_4)
	v_dual_mul_f32 v142, v47, v7 :: v_dual_fmac_f32 v139, v44, v4
	v_mul_f32_e32 v44, v48, v43
	v_fma_f32 v8, v8, v4, -v138
	v_fma_f32 v10, v10, v6, -v140
	v_dual_fmac_f32 v141, v46, v6 :: v_dual_mul_f32 v46, v12, v43
	v_mul_f32_e32 v138, v45, v5
	v_mul_f32_e32 v140, v9, v5
	v_fma_f32 v12, v12, v42, -v44
	v_fma_f32 v44, v11, v6, -v142
	v_mul_f32_e32 v142, v14, v5
	v_fmac_f32_e32 v46, v48, v42
	v_fma_f32 v9, v9, v4, -v138
	v_dual_fmac_f32 v140, v45, v4 :: v_dual_mul_f32 v11, v11, v7
	v_mul_f32_e32 v45, v49, v43
	v_mul_f32_e32 v48, v13, v43
	;; [unrolled: 1-line block ×3, first 2 shown]
	v_fmac_f32_e32 v142, v50, v4
	v_dual_mul_f32 v50, v18, v43 :: v_dual_fmac_f32 v11, v47, v6
	v_fma_f32 v13, v13, v42, -v45
	v_fmac_f32_e32 v48, v49, v42
	v_fma_f32 v14, v14, v4, -v138
	v_mul_f32_e32 v45, v52, v7
	v_mul_f32_e32 v47, v16, v7
	v_dual_mul_f32 v49, v54, v43 :: v_dual_mul_f32 v138, v51, v5
	v_fmac_f32_e32 v50, v54, v42
	v_mul_f32_e32 v54, v55, v43
	v_fma_f32 v16, v16, v6, -v45
	v_fmac_f32_e32 v47, v52, v6
	v_fma_f32 v45, v15, v4, -v138
	v_dual_mul_f32 v15, v15, v5 :: v_dual_mul_f32 v52, v17, v7
	v_mul_f32_e32 v138, v19, v43
	v_fma_f32 v19, v19, v42, -v54
	v_mul_f32_e32 v54, v24, v7
	v_fma_f32 v18, v18, v42, -v49
	v_mul_f32_e32 v49, v53, v7
	v_dual_fmac_f32 v52, v53, v6 :: v_dual_mul_f32 v53, v60, v7
	v_sub_f32_e32 v10, v137, v10
	v_fmac_f32_e32 v54, v60, v6
	v_dual_mul_f32 v60, v25, v7 :: v_dual_fmac_f32 v15, v51, v4
	v_mul_f32_e32 v51, v22, v5
	v_fma_f32 v17, v17, v6, -v49
	v_dual_mul_f32 v49, v58, v5 :: v_dual_fmac_f32 v138, v55, v42
	v_dual_mul_f32 v55, v62, v43 :: v_dual_sub_f32 v12, v8, v12
	s_delay_alu instid0(VALU_DEP_4) | instskip(SKIP_3) | instid1(VALU_DEP_4)
	v_dual_fmac_f32 v51, v58, v4 :: v_dual_mul_f32 v58, v61, v7
	v_fma_f32 v24, v24, v6, -v53
	v_dual_mul_f32 v53, v59, v5 :: v_dual_fmac_f32 v60, v61, v6
	v_dual_mul_f32 v61, v36, v5 :: v_dual_sub_f32 v46, v139, v46
	v_fma_f32 v25, v25, v6, -v58
	v_mul_f32_e32 v58, v27, v43
	v_fma_f32 v22, v22, v4, -v49
	v_fma_f32 v49, v26, v42, -v55
	v_mul_f32_e32 v55, v23, v5
	v_fma_f32 v23, v23, v4, -v53
	v_mul_f32_e32 v53, v63, v43
	v_fmac_f32_e32 v58, v63, v42
	v_dual_mul_f32 v63, v131, v5 :: v_dual_sub_f32 v16, v148, v16
	v_dual_mul_f32 v26, v26, v43 :: v_dual_fmac_f32 v55, v59, v4
	v_fma_f32 v8, v8, 2.0, -v12
	v_mul_f32_e32 v59, v130, v5
	v_mul_f32_e32 v5, v37, v5
	v_fma_f32 v37, v37, v4, -v63
	v_fma_f32 v63, v137, 2.0, -v10
	v_fmac_f32_e32 v26, v62, v42
	v_mul_f32_e32 v62, v132, v7
	v_fma_f32 v27, v27, v42, -v53
	v_fmac_f32_e32 v61, v130, v4
	v_sub_f32_e32 v8, v63, v8
	v_fma_f32 v36, v36, v4, -v59
	v_mul_f32_e32 v59, v134, v43
	v_fma_f32 v53, v38, v6, -v62
	v_dual_mul_f32 v62, v40, v43 :: v_dual_fmac_f32 v5, v131, v4
	v_sub_f32_e32 v18, v14, v18
	s_delay_alu instid0(VALU_DEP_4) | instskip(SKIP_4) | instid1(VALU_DEP_4)
	v_fma_f32 v40, v40, v42, -v59
	v_dual_sub_f32 v59, v0, v141 :: v_dual_sub_f32 v50, v142, v50
	v_mul_f32_e32 v4, v133, v7
	v_fma_f32 v130, v139, 2.0, -v46
	v_mul_f32_e32 v38, v38, v7
	v_fma_f32 v0, v0, 2.0, -v59
	v_mul_f32_e32 v7, v39, v7
	v_fma_f32 v4, v39, v6, -v4
	v_mul_f32_e32 v39, v135, v43
	v_sub_f32_e32 v47, v136, v47
	v_sub_f32_e32 v130, v0, v130
	v_fmac_f32_e32 v38, v132, v6
	v_dual_fmac_f32 v7, v133, v6 :: v_dual_sub_f32 v24, v20, v24
	v_fma_f32 v6, v41, v42, -v39
	v_dual_sub_f32 v11, v66, v11 :: v_dual_sub_f32 v54, v56, v54
	v_fma_f32 v131, v136, 2.0, -v47
	v_fma_f32 v132, v142, 2.0, -v50
	v_mul_f32_e32 v43, v41, v43
	v_fma_f32 v41, v0, 2.0, -v130
	v_sub_f32_e32 v0, v147, v44
	v_add_f32_e32 v44, v59, v12
	v_sub_f32_e32 v132, v131, v132
	v_fmac_f32_e32 v62, v134, v42
	v_fmac_f32_e32 v43, v135, v42
	v_dual_sub_f32 v42, v10, v46 :: v_dual_sub_f32 v13, v9, v13
	v_sub_f32_e32 v46, v140, v48
	v_fma_f32 v48, v59, 2.0, -v44
	v_fma_f32 v59, v66, 2.0, -v11
	;; [unrolled: 1-line block ×5, first 2 shown]
	v_add_f32_e32 v133, v11, v13
	v_sub_f32_e32 v53, v28, v53
	v_fma_f32 v12, v147, 2.0, -v0
	v_sub_f32_e32 v13, v66, v14
	v_sub_f32_e32 v14, v146, v17
	v_fma_f32 v134, v11, 2.0, -v133
	v_dual_sub_f32 v17, v16, v50 :: v_dual_sub_f32 v4, v29, v4
	s_delay_alu instid0(VALU_DEP_4)
	v_fma_f32 v11, v66, 2.0, -v13
	v_fma_f32 v66, v131, 2.0, -v132
	v_add_f32_e32 v50, v47, v18
	v_sub_f32_e32 v18, v30, v52
	v_fma_f32 v28, v28, 2.0, -v53
	v_sub_f32_e32 v131, v15, v138
	v_dual_sub_f32 v9, v12, v9 :: v_dual_sub_f32 v26, v51, v26
	v_sub_f32_e32 v19, v45, v19
	v_fma_f32 v30, v30, 2.0, -v18
	s_delay_alu instid0(VALU_DEP_4) | instskip(SKIP_3) | instid1(VALU_DEP_4)
	v_fma_f32 v15, v15, 2.0, -v131
	v_dual_sub_f32 v49, v22, v49 :: v_dual_sub_f32 v38, v64, v38
	v_fma_f32 v39, v63, 2.0, -v8
	v_fma_f32 v63, v140, 2.0, -v46
	v_sub_f32_e32 v135, v30, v15
	v_fma_f32 v15, v20, 2.0, -v24
	v_fma_f32 v20, v56, 2.0, -v54
	;; [unrolled: 1-line block ×4, first 2 shown]
	v_sub_f32_e32 v56, v14, v131
	v_dual_add_f32 v131, v18, v19 :: v_dual_sub_f32 v6, v37, v6
	v_sub_f32_e32 v63, v59, v63
	v_fma_f32 v45, v45, 2.0, -v19
	v_sub_f32_e32 v19, v15, v22
	s_delay_alu instid0(VALU_DEP_4)
	v_fma_f32 v137, v18, 2.0, -v131
	v_sub_f32_e32 v18, v21, v25
	v_dual_sub_f32 v22, v24, v26 :: v_dual_sub_f32 v25, v57, v60
	v_dual_sub_f32 v26, v55, v58 :: v_dual_sub_f32 v51, v20, v51
	v_fma_f32 v136, v30, 2.0, -v135
	v_fma_f32 v52, v146, 2.0, -v14
	;; [unrolled: 1-line block ×3, first 2 shown]
	s_delay_alu instid0(VALU_DEP_4)
	v_fma_f32 v30, v55, 2.0, -v26
	v_sub_f32_e32 v26, v18, v26
	v_fma_f32 v138, v20, 2.0, -v51
	v_sub_f32_e32 v20, v23, v27
	v_fma_f32 v27, v57, 2.0, -v25
	v_fma_f32 v37, v37, 2.0, -v6
	v_sub_f32_e32 v46, v0, v46
	v_sub_f32_e32 v45, v52, v45
	v_fma_f32 v10, v10, 2.0, -v42
	v_dual_sub_f32 v55, v27, v30 :: v_dual_sub_f32 v30, v36, v40
	v_sub_f32_e32 v40, v61, v62
	v_fma_f32 v12, v12, 2.0, -v9
	v_fma_f32 v23, v23, 2.0, -v20
	v_sub_f32_e32 v7, v65, v7
	v_fma_f32 v36, v36, 2.0, -v30
	v_fma_f32 v58, v61, 2.0, -v40
	v_add_f32_e32 v62, v38, v30
	v_sub_f32_e32 v30, v29, v37
	v_add_f32_e32 v57, v25, v20
	v_fma_f32 v20, v64, 2.0, -v38
	v_sub_f32_e32 v36, v28, v36
	v_fma_f32 v60, v27, 2.0, -v55
	v_sub_f32_e32 v27, v5, v43
	ds_store_b32 v32, v39
	ds_store_b32 v34, v10
	v_lshl_add_u32 v39, v129, 2, v3
	v_fma_f32 v0, v0, 2.0, -v46
	ds_store_b32 v33, v8
	ds_store_b32 v35, v42
	;; [unrolled: 1-line block ×5, first 2 shown]
	v_lshl_add_u32 v42, v126, 2, v3
	v_fma_f32 v16, v16, 2.0, -v17
	v_fma_f32 v61, v25, 2.0, -v57
	v_sub_f32_e32 v58, v20, v58
	v_fma_f32 v25, v28, 2.0, -v36
	v_sub_f32_e32 v28, v53, v40
	v_fma_f32 v40, v65, 2.0, -v7
	v_fma_f32 v5, v5, 2.0, -v27
	;; [unrolled: 1-line block ×4, first 2 shown]
	ds_store_b32 v42, v46
	ds_store_b32 v125, v11
	;; [unrolled: 1-line block ×5, first 2 shown]
	v_lshl_add_u32 v46, v121, 2, v3
	v_fma_f32 v14, v14, 2.0, -v56
	v_fma_f32 v43, v20, 2.0, -v58
	;; [unrolled: 1-line block ×3, first 2 shown]
	v_sub_f32_e32 v53, v40, v5
	v_sub_f32_e32 v5, v4, v27
	;; [unrolled: 1-line block ×3, first 2 shown]
	v_fma_f32 v15, v15, 2.0, -v19
	v_dual_add_f32 v49, v54, v49 :: v_dual_add_f32 v64, v7, v6
	v_fma_f32 v24, v24, 2.0, -v22
	ds_store_b32 v46, v52
	ds_store_b32 v120, v14
	;; [unrolled: 1-line block ×5, first 2 shown]
	v_lshl_add_u32 v45, v116, 2, v3
	v_fma_f32 v6, v29, 2.0, -v30
	v_lshl_add_u32 v52, v115, 2, v3
	v_fma_f32 v4, v4, 2.0, -v5
	;; [unrolled: 2-line block ×3, first 2 shown]
	v_fma_f32 v18, v18, 2.0, -v26
	v_fma_f32 v65, v38, 2.0, -v62
	;; [unrolled: 1-line block ×3, first 2 shown]
	ds_store_b32 v45, v24
	ds_store_b32 v52, v19
	;; [unrolled: 1-line block ×15, first 2 shown]
	global_wb scope:SCOPE_SE
	s_wait_dscnt 0x0
	s_barrier_signal -1
	s_barrier_wait -1
	global_inv scope:SCOPE_SE
	ds_load_b32 v38, v31
	ds_load_2addr_stride64_b32 v[5:6], v32 offset0:8 offset1:10
	ds_load_2addr_stride64_b32 v[3:4], v32 offset0:16 offset1:18
	;; [unrolled: 1-line block ×7, first 2 shown]
	ds_load_b32 v37, v35
	ds_load_b32 v0, v34
	;; [unrolled: 1-line block ×3, first 2 shown]
	ds_load_2addr_stride64_b32 v[19:20], v32 offset0:12 offset1:14
	ds_load_2addr_stride64_b32 v[17:18], v32 offset0:20 offset1:22
	;; [unrolled: 1-line block ×7, first 2 shown]
	v_fma_f32 v59, v59, 2.0, -v63
	v_fma_f32 v47, v47, 2.0, -v50
	;; [unrolled: 1-line block ×4, first 2 shown]
	global_wb scope:SCOPE_SE
	s_wait_dscnt 0x0
	s_barrier_signal -1
	s_barrier_wait -1
	global_inv scope:SCOPE_SE
	ds_store_b32 v32, v41
	ds_store_b32 v34, v48
	;; [unrolled: 1-line block ×32, first 2 shown]
	global_wb scope:SCOPE_SE
	s_wait_dscnt 0x0
	s_barrier_signal -1
	s_barrier_wait -1
	global_inv scope:SCOPE_SE
	s_and_saveexec_b32 s0, vcc_lo
	s_cbranch_execz .LBB0_8
; %bb.7:
	v_mul_u32_u24_e32 v39, 7, v98
	v_mul_i32_i24_e32 v108, 7, v101
	v_mad_co_u64_u32 v[150:151], null, s4, v98, 0
	s_delay_alu instid0(VALU_DEP_3)
	v_lshlrev_b32_e32 v51, 3, v39
	s_clause 0x3
	global_load_b128 v[39:42], v51, s[8:9] offset:4032
	global_load_b128 v[43:46], v51, s[8:9] offset:4064
	;; [unrolled: 1-line block ×3, first 2 shown]
	global_load_b64 v[120:121], v51, s[8:9] offset:4080
	v_mov_b32_e32 v109, 0
	s_delay_alu instid0(VALU_DEP_1) | instskip(SKIP_1) | instid1(VALU_DEP_2)
	v_lshlrev_b64_e32 v[51:52], 3, v[108:109]
	v_mul_i32_i24_e32 v108, 7, v100
	v_add_co_u32 v63, vcc_lo, s8, v51
	s_wait_alu 0xfffd
	s_delay_alu instid0(VALU_DEP_3)
	v_add_co_ci_u32_e32 v64, vcc_lo, s9, v52, vcc_lo
	s_clause 0x3
	global_load_b128 v[51:54], v[63:64], off offset:4032
	global_load_b128 v[55:58], v[63:64], off offset:4064
	;; [unrolled: 1-line block ×3, first 2 shown]
	global_load_b64 v[122:123], v[63:64], off offset:4080
	v_lshlrev_b64_e32 v[63:64], 3, v[108:109]
	v_mul_i32_i24_e32 v108, 7, v99
	s_delay_alu instid0(VALU_DEP_1) | instskip(NEXT) | instid1(VALU_DEP_3)
	v_lshlrev_b64_e32 v[108:109], 3, v[108:109]
	v_add_co_u32 v110, vcc_lo, s8, v63
	s_wait_alu 0xfffd
	s_delay_alu instid0(VALU_DEP_4)
	v_add_co_ci_u32_e32 v111, vcc_lo, s9, v64, vcc_lo
	s_clause 0x3
	global_load_b128 v[63:66], v[110:111], off offset:4032
	global_load_b128 v[100:103], v[110:111], off offset:4064
	;; [unrolled: 1-line block ×3, first 2 shown]
	global_load_b64 v[124:125], v[110:111], off offset:4080
	v_add_co_u32 v126, vcc_lo, s8, v108
	s_wait_alu 0xfffd
	v_add_co_ci_u32_e32 v127, vcc_lo, s9, v109, vcc_lo
	s_clause 0x3
	global_load_b128 v[108:111], v[126:127], off offset:4032
	global_load_b128 v[112:115], v[126:127], off offset:4064
	global_load_b128 v[116:119], v[126:127], off offset:4048
	global_load_b64 v[126:127], v[126:127], off offset:4080
	ds_load_2addr_stride64_b32 v[128:129], v32 offset0:20 offset1:22
	ds_load_2addr_stride64_b32 v[130:131], v32 offset0:52 offset1:54
	;; [unrolled: 1-line block ×14, first 2 shown]
	ds_load_b32 v158, v35
	ds_load_b32 v159, v34
	;; [unrolled: 1-line block ×4, first 2 shown]
	v_mad_co_u64_u32 v[32:33], null, s4, v97, 0
	v_mov_b32_e32 v31, v151
	v_mad_co_u64_u32 v[34:35], null, s4, v96, 0
	s_wait_loadcnt_dscnt 0xf09
	v_mul_f32_e32 v162, v40, v144
	s_wait_loadcnt_dscnt 0xd07
	v_dual_mul_f32 v163, v44, v146 :: v_dual_mul_f32 v164, v47, v148
	v_mul_f32_e32 v148, v48, v148
	v_mad_co_u64_u32 v[98:99], null, s5, v98, v[31:32]
	v_mul_f32_e32 v31, v42, v138
	v_dual_mul_f32 v99, v46, v140 :: v_dual_mul_f32 v146, v43, v146
	v_dual_mul_f32 v151, v49, v142 :: v_dual_mul_f32 v144, v39, v144
	s_wait_loadcnt_dscnt 0xc06
	v_dual_mul_f32 v165, v120, v152 :: v_dual_mul_f32 v142, v50, v142
	v_mul_f32_e32 v152, v121, v152
	v_mul_f32_e32 v138, v41, v138
	s_delay_alu instid0(VALU_DEP_3)
	v_dual_mul_f32 v140, v45, v140 :: v_dual_fmac_f32 v165, v15, v121
	v_fma_f32 v31, v3, v41, -v31
	v_fma_f32 v41, v9, v45, -v99
	v_dual_fmac_f32 v151, v7, v50 :: v_dual_fmac_f32 v164, v13, v48
	v_fma_f32 v39, v5, v39, -v162
	v_fma_f32 v43, v11, v43, -v163
	;; [unrolled: 1-line block ×4, first 2 shown]
	v_fmac_f32_e32 v144, v5, v40
	v_fmac_f32_e32 v146, v11, v44
	v_fma_f32 v5, v7, v49, -v142
	s_wait_loadcnt 0xa
	v_dual_mul_f32 v7, v58, v131 :: v_dual_fmac_f32 v138, v3, v42
	v_dual_fmac_f32 v140, v9, v46 :: v_dual_mul_f32 v11, v52, v135
	v_mul_f32_e32 v3, v54, v129
	s_wait_loadcnt 0x9
	v_mul_f32_e32 v9, v61, v133
	v_dual_mul_f32 v40, v56, v137 :: v_dual_mul_f32 v47, v51, v135
	s_wait_dscnt 0x5
	v_dual_mul_f32 v42, v59, v155 :: v_dual_mul_f32 v49, v62, v133
	s_wait_loadcnt_dscnt 0x804
	v_dual_mul_f32 v44, v122, v157 :: v_dual_mul_f32 v45, v60, v155
	v_dual_mul_f32 v46, v123, v157 :: v_dual_mul_f32 v99, v57, v131
	v_dual_mul_f32 v48, v55, v137 :: v_dual_sub_f32 v15, v13, v15
	v_dual_mul_f32 v50, v53, v129 :: v_dual_sub_f32 v43, v39, v43
	s_wait_dscnt 0x0
	v_dual_sub_f32 v41, v31, v41 :: v_dual_sub_f32 v120, v161, v151
	v_dual_sub_f32 v121, v164, v165 :: v_dual_fmac_f32 v44, v30, v123
	v_dual_sub_f32 v129, v144, v146 :: v_dual_fmac_f32 v48, v26, v56
	;; [unrolled: 1-line block ×3, first 2 shown]
	v_sub_f32_e32 v131, v138, v140
	v_fma_f32 v3, v18, v53, -v3
	v_fma_f32 v7, v24, v57, -v7
	v_fmac_f32_e32 v9, v22, v62
	v_fma_f32 v11, v20, v51, -v11
	v_fma_f32 v40, v26, v55, -v40
	;; [unrolled: 1-line block ×4, first 2 shown]
	v_dual_fmac_f32 v47, v20, v52 :: v_dual_fmac_f32 v50, v18, v54
	v_fma_f32 v20, v22, v61, -v49
	s_wait_loadcnt 0x7
	v_dual_fmac_f32 v99, v24, v58 :: v_dual_mul_f32 v18, v66, v128
	s_wait_loadcnt 0x6
	v_mul_f32_e32 v22, v103, v130
	s_wait_loadcnt 0x5
	v_dual_mul_f32 v26, v106, v132 :: v_dual_mul_f32 v51, v105, v154
	v_dual_mul_f32 v24, v64, v134 :: v_dual_mul_f32 v45, v101, v136
	;; [unrolled: 1-line block ×3, first 2 shown]
	s_wait_loadcnt 0x4
	v_dual_mul_f32 v49, v124, v156 :: v_dual_add_f32 v60, v129, v15
	v_dual_mul_f32 v52, v125, v156 :: v_dual_mul_f32 v53, v63, v134
	v_mul_f32_e32 v54, v100, v136
	v_dual_mul_f32 v56, v65, v128 :: v_dual_mul_f32 v57, v102, v130
	v_dual_add_f32 v58, v41, v120 :: v_dual_sub_f32 v59, v43, v121
	v_dual_sub_f32 v61, v5, v131 :: v_dual_sub_f32 v40, v11, v40
	v_fma_f32 v62, v161, 2.0, -v120
	v_fma_f32 v122, v138, 2.0, -v131
	;; [unrolled: 1-line block ×8, first 2 shown]
	v_dual_sub_f32 v7, v3, v7 :: v_dual_sub_f32 v44, v42, v44
	v_dual_sub_f32 v9, v158, v9 :: v_dual_sub_f32 v30, v28, v30
	;; [unrolled: 1-line block ×3, first 2 shown]
	v_dual_sub_f32 v20, v37, v20 :: v_dual_fmac_f32 v57, v23, v103
	v_fma_f32 v18, v17, v65, -v18
	v_fma_f32 v22, v23, v102, -v22
	v_dual_fmac_f32 v26, v21, v107 :: v_dual_fmac_f32 v53, v19, v64
	v_fma_f32 v63, v19, v63, -v24
	v_fma_f32 v45, v25, v100, -v45
	v_fmac_f32_e32 v46, v27, v105
	s_wait_loadcnt 0x1
	v_dual_fmac_f32 v49, v29, v125 :: v_dual_mul_f32 v102, v119, v143
	v_fma_f32 v51, v27, v104, -v51
	v_fma_f32 v27, v29, v124, -v52
	v_fmac_f32_e32 v54, v25, v101
	v_fma_f32 v19, v21, v106, -v55
	v_dual_fmac_f32 v56, v17, v66 :: v_dual_mul_f32 v21, v115, v141
	v_mul_f32_e32 v17, v111, v139
	v_mul_f32_e32 v29, v118, v143
	v_dual_mul_f32 v25, v109, v145 :: v_dual_fmamk_f32 v24, v60, 0x3f3504f3, v58
	v_dual_mul_f32 v52, v113, v147 :: v_dual_mul_f32 v55, v116, v149
	s_wait_loadcnt 0x0
	v_dual_mul_f32 v64, v126, v153 :: v_dual_mul_f32 v101, v112, v147
	v_mul_f32_e32 v65, v117, v149
	v_dual_mul_f32 v66, v127, v153 :: v_dual_mul_f32 v103, v110, v139
	v_dual_mul_f32 v100, v108, v145 :: v_dual_fmamk_f32 v23, v59, 0x3f3504f3, v61
	v_dual_mul_f32 v104, v114, v141 :: v_dual_sub_f32 v31, v15, v31
	v_sub_f32_e32 v105, v62, v122
	v_dual_sub_f32 v13, v39, v13 :: v_dual_sub_f32 v22, v18, v22
	v_sub_f32_e32 v41, v38, v41
	v_fma_f32 v106, v120, 2.0, -v58
	v_fma_f32 v43, v43, 2.0, -v59
	v_fma_f32 v107, v129, 2.0, -v60
	v_fma_f32 v120, v5, 2.0, -v61
	v_dual_add_f32 v121, v7, v9 :: v_dual_sub_f32 v54, v53, v54
	v_dual_sub_f32 v5, v40, v44 :: v_dual_fmac_f32 v100, v6, v109
	v_add_f32_e32 v122, v48, v30
	v_sub_f32_e32 v123, v20, v99
	v_fma_f32 v50, v50, 2.0, -v99
	v_fma_f32 v99, v37, 2.0, -v20
	;; [unrolled: 1-line block ×3, first 2 shown]
	v_sub_f32_e32 v42, v160, v26
	v_sub_f32_e32 v44, v63, v45
	v_add_f32_e32 v26, v105, v13
	v_dual_sub_f32 v45, v46, v49 :: v_dual_fmac_f32 v64, v16, v127
	v_sub_f32_e32 v49, v51, v27
	v_sub_f32_e32 v19, v36, v19
	v_dual_sub_f32 v57, v56, v57 :: v_dual_fmac_f32 v104, v10, v115
	v_fma_f32 v124, v158, 2.0, -v9
	v_fma_f32 v11, v11, 2.0, -v40
	;; [unrolled: 1-line block ×5, first 2 shown]
	v_fma_f32 v17, v4, v110, -v17
	v_fma_f32 v108, v6, v108, -v25
	;; [unrolled: 1-line block ×3, first 2 shown]
	v_dual_fmac_f32 v55, v14, v117 :: v_dual_fmac_f32 v24, 0x3f3504f3, v59
	v_fma_f32 v14, v14, v116, -v65
	v_fma_f32 v16, v16, v126, -v66
	v_fmac_f32_e32 v101, v12, v113
	v_fma_f32 v6, v8, v118, -v102
	v_dual_fmac_f32 v23, 0xbf3504f3, v60 :: v_dual_sub_f32 v12, v124, v50
	v_dual_fmamk_f32 v28, v107, 0xbf3504f3, v106 :: v_dual_fmac_f32 v103, v4, v111
	v_sub_f32_e32 v110, v19, v57
	v_fmamk_f32 v27, v43, 0xbf3504f3, v120
	v_fma_f32 v66, v62, 2.0, -v105
	v_fmamk_f32 v4, v122, 0x3f3504f3, v121
	v_dual_fmac_f32 v29, v8, v119 :: v_dual_add_f32 v102, v54, v49
	v_fma_f32 v59, v9, 2.0, -v121
	v_fma_f32 v60, v40, 2.0, -v5
	;; [unrolled: 1-line block ×3, first 2 shown]
	v_sub_f32_e32 v20, v44, v45
	v_fma_f32 v111, v160, 2.0, -v42
	v_fma_f32 v9, v56, 2.0, -v57
	;; [unrolled: 1-line block ×4, first 2 shown]
	v_fma_f32 v21, v10, v114, -v21
	v_sub_f32_e32 v25, v31, v41
	v_fma_f32 v8, v38, 2.0, -v41
	v_fma_f32 v109, v15, 2.0, -v31
	;; [unrolled: 1-line block ×3, first 2 shown]
	v_fmamk_f32 v3, v5, 0x3f3504f3, v123
	v_dual_sub_f32 v13, v11, v30 :: v_dual_fmac_f32 v28, 0x3f3504f3, v43
	v_sub_f32_e32 v50, v99, v7
	s_delay_alu instid0(VALU_DEP_4)
	v_dual_sub_f32 v15, v47, v37 :: v_dual_sub_f32 v38, v109, v10
	v_dual_add_f32 v65, v22, v42 :: v_dual_fmac_f32 v4, 0x3f3504f3, v5
	v_fma_f32 v49, v36, 2.0, -v19
	v_fma_f32 v18, v18, 2.0, -v22
	;; [unrolled: 1-line block ×4, first 2 shown]
	v_dual_sub_f32 v46, v159, v29 :: v_dual_sub_f32 v51, v108, v52
	v_sub_f32_e32 v52, v14, v16
	v_dual_fmamk_f32 v16, v102, 0x3f3504f3, v65 :: v_dual_sub_f32 v53, v100, v101
	v_sub_f32_e32 v57, v0, v6
	v_fma_f32 v30, v58, 2.0, -v24
	v_sub_f32_e32 v58, v111, v9
	v_fma_f32 v29, v61, 2.0, -v23
	v_fma_f32 v37, v105, 2.0, -v26
	;; [unrolled: 1-line block ×3, first 2 shown]
	v_sub_f32_e32 v61, v56, v40
	v_sub_f32_e32 v63, v103, v104
	v_fma_f32 v104, v44, 2.0, -v20
	v_fma_f32 v105, v19, 2.0, -v110
	;; [unrolled: 1-line block ×3, first 2 shown]
	v_sub_f32_e32 v21, v17, v21
	v_dual_sub_f32 v45, v55, v64 :: v_dual_add_f32 v6, v12, v13
	v_sub_f32_e32 v64, v49, v18
	v_fma_f32 v101, v42, 2.0, -v65
	v_dual_add_f32 v113, v53, v52 :: v_dual_fmamk_f32 v42, v104, 0xbf3504f3, v105
	s_delay_alu instid0(VALU_DEP_4) | instskip(SKIP_2) | instid1(VALU_DEP_4)
	v_dual_fmac_f32 v27, 0xbf3504f3, v107 :: v_dual_sub_f32 v112, v51, v45
	v_fma_f32 v0, v0, 2.0, -v57
	v_fma_f32 v36, v31, 2.0, -v25
	v_fmac_f32_e32 v42, 0xbf3504f3, v54
	v_add_f32_e32 v18, v58, v61
	v_dual_sub_f32 v39, v66, v8 :: v_dual_sub_f32 v114, v57, v63
	v_dual_fmamk_f32 v8, v48, 0xbf3504f3, v59 :: v_dual_add_f32 v107, v21, v46
	v_fma_f32 v21, v17, 2.0, -v21
	v_sub_f32_e32 v5, v50, v15
	v_fma_f32 v31, v124, 2.0, -v12
	s_delay_alu instid0(VALU_DEP_4)
	v_fmac_f32_e32 v8, 0x3f3504f3, v60
	v_fma_f32 v43, v47, 2.0, -v15
	v_fma_f32 v47, v99, 2.0, -v50
	v_dual_sub_f32 v99, v22, v41 :: v_dual_fmac_f32 v16, 0x3f3504f3, v20
	v_fma_f32 v115, v159, 2.0, -v46
	v_fma_f32 v19, v103, 2.0, -v63
	v_fmamk_f32 v7, v60, 0xbf3504f3, v62
	v_fma_f32 v60, v111, 2.0, -v58
	v_fma_f32 v111, v51, 2.0, -v112
	;; [unrolled: 1-line block ×3, first 2 shown]
	v_sub_f32_e32 v103, v0, v21
	v_fmac_f32_e32 v3, 0xbf3504f3, v122
	v_fma_f32 v11, v11, 2.0, -v13
	v_fma_f32 v63, v108, 2.0, -v51
	v_fma_f32 v52, v14, 2.0, -v52
	v_fma_f32 v100, v100, 2.0, -v53
	v_fma_f32 v55, v55, 2.0, -v45
	v_fma_f32 v14, v12, 2.0, -v6
	v_sub_f32_e32 v12, v31, v43
	v_fma_f32 v13, v50, 2.0, -v5
	v_fma_f32 v50, v22, 2.0, -v99
	;; [unrolled: 1-line block ×4, first 2 shown]
	v_fmamk_f32 v43, v54, 0xbf3504f3, v101
	v_dual_fmamk_f32 v54, v111, 0xbf3504f3, v117 :: v_dual_sub_f32 v17, v64, v99
	v_fma_f32 v99, v49, 2.0, -v64
	v_fmamk_f32 v15, v20, 0x3f3504f3, v110
	v_fma_f32 v41, v106, 2.0, -v28
	v_dual_sub_f32 v61, v63, v52 :: v_dual_sub_f32 v106, v100, v55
	v_fma_f32 v116, v53, 2.0, -v113
	v_dual_sub_f32 v51, v60, v50 :: v_dual_sub_f32 v50, v99, v56
	v_dual_fmac_f32 v15, 0xbf3504f3, v102 :: v_dual_sub_f32 v102, v115, v19
	s_delay_alu instid0(VALU_DEP_3) | instskip(SKIP_4) | instid1(VALU_DEP_4)
	v_fmac_f32_e32 v54, 0xbf3504f3, v116
	v_dual_fmac_f32 v7, 0xbf3504f3, v48 :: v_dual_sub_f32 v52, v103, v106
	v_fma_f32 v48, v64, 2.0, -v17
	v_fma_f32 v64, v63, 2.0, -v61
	v_dual_fmamk_f32 v44, v112, 0x3f3504f3, v114 :: v_dual_sub_f32 v11, v47, v11
	v_fma_f32 v19, v62, 2.0, -v7
	v_fma_f32 v22, v31, 2.0, -v12
	s_delay_alu instid0(VALU_DEP_4) | instskip(NEXT) | instid1(VALU_DEP_4)
	v_sub_f32_e32 v64, v0, v64
	v_fmac_f32_e32 v44, 0xbf3504f3, v113
	v_fmac_f32_e32 v43, 0x3f3504f3, v104
	v_fma_f32 v31, v115, 2.0, -v102
	v_fma_f32 v62, v100, 2.0, -v106
	;; [unrolled: 1-line block ×6, first 2 shown]
	v_mov_b32_e32 v0, v33
	v_mad_co_u64_u32 v[105:106], null, s4, v95, 0
	v_fma_f32 v21, v47, 2.0, -v11
	v_fma_f32 v47, v65, 2.0, -v16
	v_add_f32_e32 v53, v102, v61
	v_sub_f32_e32 v65, v31, v62
	v_fmamk_f32 v45, v113, 0x3f3504f3, v107
	v_fmamk_f32 v55, v116, 0xbf3504f3, v108
	v_mov_b32_e32 v151, v98
	v_mad_co_u64_u32 v[97:98], null, s5, v97, v[0:1]
	v_add_co_u32 v0, vcc_lo, s2, v1
	v_fma_f32 v63, v102, 2.0, -v53
	v_fma_f32 v102, v31, 2.0, -v65
	v_mov_b32_e32 v31, v35
	v_fmac_f32_e32 v55, 0x3f3504f3, v111
	s_wait_alu 0xfffd
	v_add_co_ci_u32_e32 v1, vcc_lo, s3, v2, vcc_lo
	v_dual_mov_b32 v2, v106 :: v_dual_fmac_f32 v45, 0x3f3504f3, v112
	v_fma_f32 v46, v110, 2.0, -v15
	v_fma_f32 v62, v103, 2.0, -v52
	;; [unrolled: 1-line block ×3, first 2 shown]
	v_mad_co_u64_u32 v[109:110], null, s5, v96, v[31:32]
	v_fma_f32 v61, v107, 2.0, -v45
	v_fma_f32 v100, v108, 2.0, -v55
	v_lshlrev_b64_e32 v[107:108], 3, v[150:151]
	v_mov_b32_e32 v33, v97
	v_fma_f32 v104, v66, 2.0, -v39
	v_fma_f32 v40, v120, 2.0, -v27
	v_mov_b32_e32 v35, v109
	v_fma_f32 v49, v58, 2.0, -v18
	v_lshlrev_b64_e32 v[31:32], 3, v[32:33]
	v_add_co_u32 v96, vcc_lo, v0, v107
	s_wait_alu 0xfffd
	v_add_co_ci_u32_e32 v97, vcc_lo, v1, v108, vcc_lo
	v_mad_co_u64_u32 v[106:107], null, s5, v95, v[2:3]
	s_delay_alu instid0(VALU_DEP_4)
	v_add_co_u32 v31, vcc_lo, v0, v31
	v_lshlrev_b64_e32 v[33:34], 3, v[34:35]
	v_mad_co_u64_u32 v[107:108], null, s4, v93, 0
	s_wait_alu 0xfffd
	v_add_co_ci_u32_e32 v32, vcc_lo, v1, v32, vcc_lo
	global_store_b64 v[96:97], v[103:104], off
	v_mad_co_u64_u32 v[95:96], null, s4, v94, 0
	global_store_b64 v[31:32], v[40:41], off
	v_add_co_u32 v31, vcc_lo, v0, v33
	s_wait_alu 0xfffd
	v_add_co_ci_u32_e32 v32, vcc_lo, v1, v34, vcc_lo
	v_lshlrev_b64_e32 v[34:35], 3, v[105:106]
	v_mad_co_u64_u32 v[97:98], null, s4, v92, 0
	v_dual_mov_b32 v2, v108 :: v_dual_mov_b32 v33, v96
	global_store_b64 v[31:32], v[36:37], off
	v_mad_co_u64_u32 v[36:37], null, s4, v90, 0
	v_mad_co_u64_u32 v[40:41], null, s5, v93, v[2:3]
	;; [unrolled: 1-line block ×3, first 2 shown]
	v_add_co_u32 v33, vcc_lo, v0, v34
	s_wait_alu 0xfffd
	v_add_co_ci_u32_e32 v34, vcc_lo, v1, v35, vcc_lo
	v_mov_b32_e32 v2, v98
	v_mov_b32_e32 v108, v40
	;; [unrolled: 1-line block ×3, first 2 shown]
	global_store_b64 v[33:34], v[29:30], off
	v_fma_f32 v58, v99, 2.0, -v50
	v_mad_co_u64_u32 v[33:34], null, s5, v92, v[2:3]
	v_mad_co_u64_u32 v[34:35], null, s4, v91, 0
	v_lshlrev_b64_e32 v[29:30], 3, v[107:108]
	v_lshlrev_b64_e32 v[31:32], 3, v[95:96]
	v_fma_f32 v99, v117, 2.0, -v54
	v_fma_f32 v20, v59, 2.0, -v8
	v_dual_mov_b32 v98, v33 :: v_dual_mov_b32 v33, v37
	v_mov_b32_e32 v2, v35
	v_add_co_u32 v29, vcc_lo, v0, v29
	s_wait_alu 0xfffd
	v_add_co_ci_u32_e32 v30, vcc_lo, v1, v30, vcc_lo
	s_delay_alu instid0(VALU_DEP_3)
	v_mad_co_u64_u32 v[91:92], null, s5, v91, v[2:3]
	v_mad_co_u64_u32 v[92:93], null, s5, v90, v[33:34]
	;; [unrolled: 1-line block ×3, first 2 shown]
	v_add_co_u32 v31, vcc_lo, v0, v31
	s_wait_alu 0xfffd
	v_add_co_ci_u32_e32 v32, vcc_lo, v1, v32, vcc_lo
	s_clause 0x1
	global_store_b64 v[29:30], v[38:39], off
	global_store_b64 v[31:32], v[27:28], off
	v_mov_b32_e32 v2, v94
	v_lshlrev_b64_e32 v[40:41], 3, v[97:98]
	v_mov_b32_e32 v35, v91
	v_mov_b32_e32 v37, v92
	v_mad_co_u64_u32 v[30:31], null, s4, v86, 0
	v_mad_co_u64_u32 v[27:28], null, s5, v89, v[2:3]
	;; [unrolled: 1-line block ×3, first 2 shown]
	v_add_co_u32 v40, vcc_lo, v0, v40
	s_wait_alu 0xfffd
	v_add_co_ci_u32_e32 v41, vcc_lo, v1, v41, vcc_lo
	v_lshlrev_b64_e32 v[32:33], 3, v[36:37]
	v_mov_b32_e32 v94, v27
	v_mov_b32_e32 v2, v29
	global_store_b64 v[40:41], v[25:26], off
	v_lshlrev_b64_e32 v[25:26], 3, v[34:35]
	v_mad_co_u64_u32 v[34:35], null, s4, v88, 0
	v_mad_co_u64_u32 v[36:37], null, s5, v87, v[2:3]
	v_mov_b32_e32 v2, v31
	s_delay_alu instid0(VALU_DEP_4)
	v_add_co_u32 v25, vcc_lo, v0, v25
	s_wait_alu 0xfffd
	v_add_co_ci_u32_e32 v26, vcc_lo, v1, v26, vcc_lo
	v_mov_b32_e32 v27, v35
	v_mov_b32_e32 v29, v36
	v_mad_co_u64_u32 v[39:40], null, s5, v86, v[2:3]
	v_lshlrev_b64_e32 v[37:38], 3, v[93:94]
	v_add_co_u32 v32, vcc_lo, v0, v32
	v_mad_co_u64_u32 v[35:36], null, s5, v88, v[27:28]
	global_store_b64 v[25:26], v[23:24], off
	v_lshlrev_b64_e32 v[23:24], 3, v[28:29]
	v_mad_co_u64_u32 v[27:28], null, s4, v85, 0
	s_wait_alu 0xfffd
	v_add_co_ci_u32_e32 v33, vcc_lo, v1, v33, vcc_lo
	v_add_co_u32 v36, vcc_lo, v0, v37
	v_mov_b32_e32 v31, v39
	s_wait_alu 0xfffd
	v_add_co_ci_u32_e32 v37, vcc_lo, v1, v38, vcc_lo
	v_mov_b32_e32 v2, v28
	s_clause 0x1
	global_store_b64 v[32:33], v[101:102], off
	global_store_b64 v[36:37], v[99:100], off
	v_lshlrev_b64_e32 v[25:26], 3, v[30:31]
	v_mad_co_u64_u32 v[31:32], null, s4, v84, 0
	v_lshlrev_b64_e32 v[29:30], 3, v[34:35]
	v_mad_co_u64_u32 v[33:34], null, s5, v85, v[2:3]
	v_mad_co_u64_u32 v[34:35], null, s4, v83, 0
	v_add_co_u32 v23, vcc_lo, v0, v23
	v_mov_b32_e32 v2, v32
	s_wait_alu 0xfffd
	v_add_co_ci_u32_e32 v24, vcc_lo, v1, v24, vcc_lo
	v_add_co_u32 v25, vcc_lo, v0, v25
	s_wait_alu 0xfffd
	v_add_co_ci_u32_e32 v26, vcc_lo, v1, v26, vcc_lo
	v_add_co_u32 v29, vcc_lo, v0, v29
	v_mad_co_u64_u32 v[36:37], null, s4, v82, 0
	v_mad_co_u64_u32 v[38:39], null, s5, v84, v[2:3]
	v_mov_b32_e32 v28, v33
	v_mov_b32_e32 v2, v35
	v_fma_f32 v59, v60, 2.0, -v51
	v_fma_f32 v60, v114, 2.0, -v44
	s_wait_alu 0xfffd
	v_add_co_ci_u32_e32 v30, vcc_lo, v1, v30, vcc_lo
	s_clause 0x2
	global_store_b64 v[23:24], v[62:63], off
	global_store_b64 v[25:26], v[60:61], off
	;; [unrolled: 1-line block ×3, first 2 shown]
	v_lshlrev_b64_e32 v[23:24], 3, v[27:28]
	v_mad_co_u64_u32 v[26:27], null, s5, v83, v[2:3]
	v_dual_mov_b32 v25, v37 :: v_dual_mov_b32 v32, v38
	v_mad_co_u64_u32 v[60:61], null, s4, v78, 0
	s_delay_alu instid0(VALU_DEP_4) | instskip(NEXT) | instid1(VALU_DEP_3)
	v_add_co_u32 v23, vcc_lo, v0, v23
	v_mad_co_u64_u32 v[27:28], null, s5, v82, v[25:26]
	s_delay_alu instid0(VALU_DEP_4)
	v_lshlrev_b64_e32 v[28:29], 3, v[31:32]
	v_mad_co_u64_u32 v[30:31], null, s4, v81, 0
	v_mov_b32_e32 v35, v26
	s_wait_alu 0xfffd
	v_add_co_ci_u32_e32 v24, vcc_lo, v1, v24, vcc_lo
	v_mov_b32_e32 v37, v27
	v_add_co_u32 v25, vcc_lo, v0, v28
	v_lshlrev_b64_e32 v[27:28], 3, v[34:35]
	v_mov_b32_e32 v2, v31
	v_mad_co_u64_u32 v[33:34], null, s4, v79, 0
	v_lshlrev_b64_e32 v[31:32], 3, v[36:37]
	s_wait_alu 0xfffd
	v_add_co_ci_u32_e32 v26, vcc_lo, v1, v29, vcc_lo
	v_mad_co_u64_u32 v[35:36], null, s5, v81, v[2:3]
	v_add_co_u32 v27, vcc_lo, v0, v27
	v_mov_b32_e32 v2, v34
	s_wait_alu 0xfffd
	v_add_co_ci_u32_e32 v28, vcc_lo, v1, v28, vcc_lo
	v_mad_co_u64_u32 v[36:37], null, s4, v80, 0
	v_add_co_u32 v38, vcc_lo, v0, v31
	v_mov_b32_e32 v31, v35
	v_mad_co_u64_u32 v[34:35], null, s5, v79, v[2:3]
	s_clause 0x2
	global_store_b64 v[23:24], v[54:55], off
	global_store_b64 v[25:26], v[52:53], off
	;; [unrolled: 1-line block ×3, first 2 shown]
	v_mov_b32_e32 v2, v61
	v_lshlrev_b64_e32 v[23:24], 3, v[30:31]
	s_wait_alu 0xfffd
	v_add_co_ci_u32_e32 v39, vcc_lo, v1, v32, vcc_lo
	v_fma_f32 v10, v121, 2.0, -v4
	v_lshlrev_b64_e32 v[25:26], 3, v[33:34]
	v_mad_co_u64_u32 v[34:35], null, s4, v72, 0
	v_mov_b32_e32 v29, v37
	v_add_co_u32 v23, vcc_lo, v0, v23
	s_wait_alu 0xfffd
	v_add_co_ci_u32_e32 v24, vcc_lo, v1, v24, vcc_lo
	s_delay_alu instid0(VALU_DEP_3) | instskip(SKIP_3) | instid1(VALU_DEP_4)
	v_mad_co_u64_u32 v[40:41], null, s5, v80, v[29:30]
	v_mad_co_u64_u32 v[29:30], null, s5, v78, v[2:3]
	;; [unrolled: 1-line block ×3, first 2 shown]
	v_add_co_u32 v25, vcc_lo, v0, v25
	v_mov_b32_e32 v37, v40
	s_wait_alu 0xfffd
	v_add_co_ci_u32_e32 v26, vcc_lo, v1, v26, vcc_lo
	s_delay_alu instid0(VALU_DEP_4) | instskip(NEXT) | instid1(VALU_DEP_3)
	v_dual_mov_b32 v61, v29 :: v_dual_mov_b32 v2, v31
	v_lshlrev_b64_e32 v[27:28], 3, v[36:37]
	s_clause 0x1
	global_store_b64 v[38:39], v[58:59], off
	global_store_b64 v[23:24], v[56:57], off
	v_lshlrev_b64_e32 v[23:24], 3, v[60:61]
	v_mad_co_u64_u32 v[32:33], null, s4, v74, 0
	v_add_co_u32 v27, vcc_lo, v0, v27
	s_wait_alu 0xfffd
	v_add_co_ci_u32_e32 v28, vcc_lo, v1, v28, vcc_lo
	s_clause 0x1
	global_store_b64 v[25:26], v[48:49], off
	global_store_b64 v[27:28], v[46:47], off
	v_mad_co_u64_u32 v[25:26], null, s5, v77, v[2:3]
	v_mad_co_u64_u32 v[26:27], null, s4, v75, 0
	v_mad_co_u64_u32 v[28:29], null, s4, v76, 0
	v_add_co_u32 v23, vcc_lo, v0, v23
	s_wait_alu 0xfffd
	v_add_co_ci_u32_e32 v24, vcc_lo, v1, v24, vcc_lo
	s_delay_alu instid0(VALU_DEP_4)
	v_dual_mov_b32 v31, v25 :: v_dual_mov_b32 v2, v27
	v_fma_f32 v9, v123, 2.0, -v3
	global_store_b64 v[23:24], v[50:51], off
	v_mov_b32_e32 v23, v29
	v_lshlrev_b64_e32 v[24:25], 3, v[30:31]
	v_mad_co_u64_u32 v[29:30], null, s5, v75, v[2:3]
	v_mov_b32_e32 v2, v33
	s_delay_alu instid0(VALU_DEP_3) | instskip(SKIP_4) | instid1(VALU_DEP_4)
	v_mad_co_u64_u32 v[30:31], null, s5, v76, v[23:24]
	v_add_co_u32 v23, vcc_lo, v0, v24
	s_wait_alu 0xfffd
	v_add_co_ci_u32_e32 v24, vcc_lo, v1, v25, vcc_lo
	v_mov_b32_e32 v27, v29
	v_mov_b32_e32 v29, v30
	v_mad_co_u64_u32 v[30:31], null, s5, v74, v[2:3]
	v_mov_b32_e32 v2, v35
	global_store_b64 v[23:24], v[42:43], off
	v_lshlrev_b64_e32 v[23:24], 3, v[26:27]
	v_lshlrev_b64_e32 v[25:26], 3, v[28:29]
	v_mad_co_u64_u32 v[27:28], null, s5, v72, v[2:3]
	v_mad_co_u64_u32 v[28:29], null, s4, v73, 0
	v_mov_b32_e32 v33, v30
	v_add_co_u32 v23, vcc_lo, v0, v23
	s_wait_alu 0xfffd
	v_add_co_ci_u32_e32 v24, vcc_lo, v1, v24, vcc_lo
	v_mov_b32_e32 v35, v27
	v_lshlrev_b64_e32 v[30:31], 3, v[32:33]
	v_mov_b32_e32 v2, v29
	v_add_co_u32 v25, vcc_lo, v0, v25
	s_delay_alu instid0(VALU_DEP_4)
	v_lshlrev_b64_e32 v[32:33], 3, v[34:35]
	s_wait_alu 0xfffd
	v_add_co_ci_u32_e32 v26, vcc_lo, v1, v26, vcc_lo
	v_add_co_u32 v30, vcc_lo, v0, v30
	v_mad_co_u64_u32 v[34:35], null, s5, v73, v[2:3]
	s_wait_alu 0xfffd
	v_add_co_ci_u32_e32 v31, vcc_lo, v1, v31, vcc_lo
	v_mad_co_u64_u32 v[35:36], null, s4, v68, 0
	v_add_co_u32 v32, vcc_lo, v0, v32
	s_wait_alu 0xfffd
	v_add_co_ci_u32_e32 v33, vcc_lo, v1, v33, vcc_lo
	s_clause 0x3
	global_store_b64 v[23:24], v[17:18], off
	global_store_b64 v[25:26], v[15:16], off
	;; [unrolled: 1-line block ×4, first 2 shown]
	v_mad_co_u64_u32 v[17:18], null, s4, v71, 0
	v_mad_co_u64_u32 v[19:20], null, s4, v67, 0
	v_dual_mov_b32 v2, v36 :: v_dual_mov_b32 v29, v34
	s_delay_alu instid0(VALU_DEP_1) | instskip(NEXT) | instid1(VALU_DEP_4)
	v_mad_co_u64_u32 v[21:22], null, s5, v68, v[2:3]
	v_mov_b32_e32 v2, v18
	s_delay_alu instid0(VALU_DEP_4) | instskip(NEXT) | instid1(VALU_DEP_4)
	v_mov_b32_e32 v18, v20
	v_lshlrev_b64_e32 v[15:16], 3, v[28:29]
	v_mad_co_u64_u32 v[22:23], null, s4, v69, 0
	s_delay_alu instid0(VALU_DEP_4) | instskip(NEXT) | instid1(VALU_DEP_4)
	v_mad_co_u64_u32 v[24:25], null, s5, v71, v[2:3]
	v_mad_co_u64_u32 v[25:26], null, s5, v67, v[18:19]
	;; [unrolled: 1-line block ×3, first 2 shown]
	v_add_co_u32 v15, vcc_lo, v0, v15
	s_wait_alu 0xfffd
	v_add_co_ci_u32_e32 v16, vcc_lo, v1, v16, vcc_lo
	v_mov_b32_e32 v2, v23
	v_mov_b32_e32 v36, v21
	;; [unrolled: 1-line block ×3, first 2 shown]
	global_store_b64 v[15:16], v[13:14], off
	v_mov_b32_e32 v20, v25
	v_mad_co_u64_u32 v[15:16], null, s5, v69, v[2:3]
	v_mov_b32_e32 v2, v27
	v_lshlrev_b64_e32 v[13:14], 3, v[35:36]
	v_lshlrev_b64_e32 v[16:17], 3, v[17:18]
	;; [unrolled: 1-line block ×3, first 2 shown]
	s_delay_alu instid0(VALU_DEP_4)
	v_mad_co_u64_u32 v[24:25], null, s5, v70, v[2:3]
	v_mov_b32_e32 v23, v15
	v_add_co_u32 v13, vcc_lo, v0, v13
	s_wait_alu 0xfffd
	v_add_co_ci_u32_e32 v14, vcc_lo, v1, v14, vcc_lo
	v_add_co_u32 v15, vcc_lo, v0, v16
	v_mov_b32_e32 v27, v24
	v_lshlrev_b64_e32 v[20:21], 3, v[22:23]
	s_wait_alu 0xfffd
	v_add_co_ci_u32_e32 v16, vcc_lo, v1, v17, vcc_lo
	v_add_co_u32 v17, vcc_lo, v0, v18
	v_lshlrev_b64_e32 v[22:23], 3, v[26:27]
	s_wait_alu 0xfffd
	v_add_co_ci_u32_e32 v18, vcc_lo, v1, v19, vcc_lo
	v_add_co_u32 v19, vcc_lo, v0, v20
	s_wait_alu 0xfffd
	v_add_co_ci_u32_e32 v20, vcc_lo, v1, v21, vcc_lo
	v_add_co_u32 v0, vcc_lo, v0, v22
	s_wait_alu 0xfffd
	v_add_co_ci_u32_e32 v1, vcc_lo, v1, v23, vcc_lo
	s_clause 0x4
	global_store_b64 v[13:14], v[9:10], off
	global_store_b64 v[15:16], v[11:12], off
	global_store_b64 v[17:18], v[7:8], off
	global_store_b64 v[19:20], v[5:6], off
	global_store_b64 v[0:1], v[3:4], off
.LBB0_8:
	s_nop 0
	s_sendmsg sendmsg(MSG_DEALLOC_VGPRS)
	s_endpgm
	.section	.rodata,"a",@progbits
	.p2align	6, 0x0
	.amdhsa_kernel fft_rtc_fwd_len4096_factors_8_16_4_8_wgs_256_tpt_128_halfLds_dim2_sp_ip_CI_sbrr_dirReg
		.amdhsa_group_segment_fixed_size 0
		.amdhsa_private_segment_fixed_size 0
		.amdhsa_kernarg_size 80
		.amdhsa_user_sgpr_count 2
		.amdhsa_user_sgpr_dispatch_ptr 0
		.amdhsa_user_sgpr_queue_ptr 0
		.amdhsa_user_sgpr_kernarg_segment_ptr 1
		.amdhsa_user_sgpr_dispatch_id 0
		.amdhsa_user_sgpr_private_segment_size 0
		.amdhsa_wavefront_size32 1
		.amdhsa_uses_dynamic_stack 0
		.amdhsa_enable_private_segment 0
		.amdhsa_system_sgpr_workgroup_id_x 1
		.amdhsa_system_sgpr_workgroup_id_y 0
		.amdhsa_system_sgpr_workgroup_id_z 0
		.amdhsa_system_sgpr_workgroup_info 0
		.amdhsa_system_vgpr_workitem_id 0
		.amdhsa_next_free_vgpr 194
		.amdhsa_next_free_sgpr 14
		.amdhsa_reserve_vcc 1
		.amdhsa_float_round_mode_32 0
		.amdhsa_float_round_mode_16_64 0
		.amdhsa_float_denorm_mode_32 3
		.amdhsa_float_denorm_mode_16_64 3
		.amdhsa_fp16_overflow 0
		.amdhsa_workgroup_processor_mode 1
		.amdhsa_memory_ordered 1
		.amdhsa_forward_progress 0
		.amdhsa_round_robin_scheduling 0
		.amdhsa_exception_fp_ieee_invalid_op 0
		.amdhsa_exception_fp_denorm_src 0
		.amdhsa_exception_fp_ieee_div_zero 0
		.amdhsa_exception_fp_ieee_overflow 0
		.amdhsa_exception_fp_ieee_underflow 0
		.amdhsa_exception_fp_ieee_inexact 0
		.amdhsa_exception_int_div_zero 0
	.end_amdhsa_kernel
	.text
.Lfunc_end0:
	.size	fft_rtc_fwd_len4096_factors_8_16_4_8_wgs_256_tpt_128_halfLds_dim2_sp_ip_CI_sbrr_dirReg, .Lfunc_end0-fft_rtc_fwd_len4096_factors_8_16_4_8_wgs_256_tpt_128_halfLds_dim2_sp_ip_CI_sbrr_dirReg
                                        ; -- End function
	.section	.AMDGPU.csdata,"",@progbits
; Kernel info:
; codeLenInByte = 15512
; NumSgprs: 16
; NumVgprs: 194
; ScratchSize: 0
; MemoryBound: 0
; FloatMode: 240
; IeeeMode: 1
; LDSByteSize: 0 bytes/workgroup (compile time only)
; SGPRBlocks: 1
; VGPRBlocks: 24
; NumSGPRsForWavesPerEU: 16
; NumVGPRsForWavesPerEU: 194
; Occupancy: 7
; WaveLimiterHint : 1
; COMPUTE_PGM_RSRC2:SCRATCH_EN: 0
; COMPUTE_PGM_RSRC2:USER_SGPR: 2
; COMPUTE_PGM_RSRC2:TRAP_HANDLER: 0
; COMPUTE_PGM_RSRC2:TGID_X_EN: 1
; COMPUTE_PGM_RSRC2:TGID_Y_EN: 0
; COMPUTE_PGM_RSRC2:TGID_Z_EN: 0
; COMPUTE_PGM_RSRC2:TIDIG_COMP_CNT: 0
	.text
	.p2alignl 7, 3214868480
	.fill 96, 4, 3214868480
	.type	__hip_cuid_6a16526573d182e6,@object ; @__hip_cuid_6a16526573d182e6
	.section	.bss,"aw",@nobits
	.globl	__hip_cuid_6a16526573d182e6
__hip_cuid_6a16526573d182e6:
	.byte	0                               ; 0x0
	.size	__hip_cuid_6a16526573d182e6, 1

	.ident	"AMD clang version 19.0.0git (https://github.com/RadeonOpenCompute/llvm-project roc-6.4.0 25133 c7fe45cf4b819c5991fe208aaa96edf142730f1d)"
	.section	".note.GNU-stack","",@progbits
	.addrsig
	.addrsig_sym __hip_cuid_6a16526573d182e6
	.amdgpu_metadata
---
amdhsa.kernels:
  - .args:
      - .actual_access:  read_only
        .address_space:  global
        .offset:         0
        .size:           8
        .value_kind:     global_buffer
      - .actual_access:  read_only
        .address_space:  global
        .offset:         8
        .size:           8
        .value_kind:     global_buffer
      - .actual_access:  read_only
        .address_space:  global
        .offset:         16
        .size:           8
        .value_kind:     global_buffer
      - .offset:         24
        .size:           8
        .value_kind:     by_value
      - .actual_access:  read_only
        .address_space:  global
        .offset:         32
        .size:           8
        .value_kind:     global_buffer
      - .actual_access:  read_only
        .address_space:  global
        .offset:         40
        .size:           8
        .value_kind:     global_buffer
      - .offset:         48
        .size:           4
        .value_kind:     by_value
      - .actual_access:  read_only
        .address_space:  global
        .offset:         56
        .size:           8
        .value_kind:     global_buffer
      - .actual_access:  read_only
        .address_space:  global
        .offset:         64
        .size:           8
        .value_kind:     global_buffer
      - .address_space:  global
        .offset:         72
        .size:           8
        .value_kind:     global_buffer
    .group_segment_fixed_size: 0
    .kernarg_segment_align: 8
    .kernarg_segment_size: 80
    .language:       OpenCL C
    .language_version:
      - 2
      - 0
    .max_flat_workgroup_size: 256
    .name:           fft_rtc_fwd_len4096_factors_8_16_4_8_wgs_256_tpt_128_halfLds_dim2_sp_ip_CI_sbrr_dirReg
    .private_segment_fixed_size: 0
    .sgpr_count:     16
    .sgpr_spill_count: 0
    .symbol:         fft_rtc_fwd_len4096_factors_8_16_4_8_wgs_256_tpt_128_halfLds_dim2_sp_ip_CI_sbrr_dirReg.kd
    .uniform_work_group_size: 1
    .uses_dynamic_stack: false
    .vgpr_count:     194
    .vgpr_spill_count: 0
    .wavefront_size: 32
    .workgroup_processor_mode: 1
amdhsa.target:   amdgcn-amd-amdhsa--gfx1201
amdhsa.version:
  - 1
  - 2
...

	.end_amdgpu_metadata
